;; amdgpu-corpus repo=ROCm/rocFFT kind=compiled arch=gfx1201 opt=O3
	.text
	.amdgcn_target "amdgcn-amd-amdhsa--gfx1201"
	.amdhsa_code_object_version 6
	.protected	bluestein_single_fwd_len6561_dim1_sp_op_CI_CI ; -- Begin function bluestein_single_fwd_len6561_dim1_sp_op_CI_CI
	.globl	bluestein_single_fwd_len6561_dim1_sp_op_CI_CI
	.p2align	8
	.type	bluestein_single_fwd_len6561_dim1_sp_op_CI_CI,@function
bluestein_single_fwd_len6561_dim1_sp_op_CI_CI: ; @bluestein_single_fwd_len6561_dim1_sp_op_CI_CI
; %bb.0:
	s_load_b128 s[12:15], s[0:1], 0x28
	v_mul_u32_u24_e32 v1, 0x10e, v0
	s_mov_b32 s2, exec_lo
	v_mov_b32_e32 v3, 0
	s_delay_alu instid0(VALU_DEP_2) | instskip(NEXT) | instid1(VALU_DEP_1)
	v_lshrrev_b32_e32 v1, 16, v1
	v_add_nc_u32_e32 v2, ttmp9, v1
	s_wait_kmcnt 0x0
	s_delay_alu instid0(VALU_DEP_1)
	v_cmpx_gt_u64_e64 s[12:13], v[2:3]
	s_cbranch_execz .LBB0_2
; %bb.1:
	s_clause 0x1
	s_load_b128 s[4:7], s[0:1], 0x18
	s_load_b128 s[8:11], s[0:1], 0x0
	v_mul_lo_u16 v1, 0xf3, v1
	s_mov_b32 s2, 0xffff7ee8
	s_mov_b32 s3, -1
	s_load_b64 s[0:1], s[0:1], 0x38
	v_mov_b32_e32 v5, v2
	v_sub_nc_u16 v96, v0, v1
	scratch_store_b64 off, v[5:6], off      ; 8-byte Folded Spill
	v_and_b32_e32 v4, 0xffff, v96
	v_and_b32_e32 v98, 0xff, v96
	s_delay_alu instid0(VALU_DEP_2)
	v_mov_b32_e32 v56, v4
	s_wait_kmcnt 0x0
	s_load_b128 s[16:19], s[4:5], 0x0
	s_wait_kmcnt 0x0
	v_mad_co_u64_u32 v[0:1], null, s18, v2, 0
	v_mad_co_u64_u32 v[2:3], null, s16, v4, 0
	s_mul_u64 s[4:5], s[16:17], 0x4458
	s_mul_u64 s[12:13], s[16:17], s[2:3]
	s_delay_alu instid0(VALU_DEP_1) | instskip(NEXT) | instid1(VALU_DEP_1)
	v_mad_co_u64_u32 v[4:5], null, s19, v5, v[1:2]
	v_mov_b32_e32 v1, v4
	s_delay_alu instid0(VALU_DEP_3) | instskip(SKIP_1) | instid1(VALU_DEP_3)
	v_mad_co_u64_u32 v[5:6], null, s17, v56, v[3:4]
	v_add_co_u32 v234, null, 0xf3, v56
	v_lshlrev_b64_e32 v[0:1], 3, v[0:1]
	v_lshlrev_b32_e32 v64, 3, v56
	v_add_co_u32 v160, null, 0x1e6, v56
	v_mov_b32_e32 v3, v5
	v_add_co_u32 v206, null, 0x2d9, v56
	v_add_co_u32 v0, vcc_lo, s14, v0
	s_delay_alu instid0(VALU_DEP_3) | instskip(SKIP_3) | instid1(VALU_DEP_4)
	v_lshlrev_b64_e32 v[2:3], 3, v[2:3]
	v_add_co_ci_u32_e32 v1, vcc_lo, s15, v1, vcc_lo
	v_add_co_u32 v211, null, 0x3cc, v56
	v_add_co_u32 v218, null, 0x4bf, v56
	v_add_co_u32 v0, vcc_lo, v0, v2
	s_wait_alu 0xfffd
	v_add_co_ci_u32_e32 v1, vcc_lo, v1, v3, vcc_lo
	v_add_co_u32 v212, null, 0x5b2, v56
	s_delay_alu instid0(VALU_DEP_3) | instskip(SKIP_1) | instid1(VALU_DEP_3)
	v_add_co_u32 v4, vcc_lo, v0, s4
	s_wait_alu 0xfffd
	v_add_co_ci_u32_e32 v5, vcc_lo, s5, v1, vcc_lo
	global_load_b64 v[46:47], v64, s[8:9]
	global_load_b64 v[0:1], v[0:1], off
	global_load_b64 v[34:35], v64, s[8:9] offset:17496
	global_load_b64 v[2:3], v[4:5], off
	v_add_co_u32 v4, vcc_lo, v4, s4
	s_wait_alu 0xfffd
	v_add_co_ci_u32_e32 v5, vcc_lo, s5, v5, vcc_lo
	global_load_b64 v[42:43], v64, s[8:9] offset:34992
	global_load_b64 v[6:7], v[4:5], off
	s_wait_alu 0xfffe
	v_add_co_u32 v8, vcc_lo, v4, s12
	s_wait_alu 0xfffd
	v_add_co_ci_u32_e32 v9, vcc_lo, s13, v5, vcc_lo
	global_load_b64 v[44:45], v64, s[8:9] offset:1944
	global_load_b64 v[4:5], v[8:9], off
	s_clause 0x2
	global_load_b64 v[40:41], v64, s[8:9] offset:36936
	global_load_b64 v[38:39], v64, s[8:9] offset:19440
	;; [unrolled: 1-line block ×3, first 2 shown]
	v_add_co_u32 v8, vcc_lo, v8, s4
	s_wait_alu 0xfffd
	v_add_co_ci_u32_e32 v9, vcc_lo, s5, v9, vcc_lo
	global_load_b64 v[54:55], v64, s[8:9] offset:38880
	v_add_co_u32 v10, vcc_lo, v8, s4
	s_wait_alu 0xfffd
	v_add_co_ci_u32_e32 v11, vcc_lo, s5, v9, vcc_lo
	s_clause 0x1
	global_load_b64 v[57:58], v64, s[8:9] offset:3888
	global_load_b64 v[61:62], v64, s[8:9] offset:5832
	v_add_co_u32 v12, vcc_lo, v10, s12
	s_wait_alu 0xfffd
	v_add_co_ci_u32_e32 v13, vcc_lo, s13, v11, vcc_lo
	global_load_b64 v[8:9], v[8:9], off
	v_add_co_u32 v14, vcc_lo, v12, s4
	s_wait_alu 0xfffd
	v_add_co_ci_u32_e32 v15, vcc_lo, s5, v13, vcc_lo
	global_load_b64 v[10:11], v[10:11], off
	;; [unrolled: 4-line block ×5, first 2 shown]
	v_add_co_u32 v22, vcc_lo, v20, s4
	s_wait_alu 0xfffd
	v_add_co_ci_u32_e32 v23, vcc_lo, s5, v21, vcc_lo
	s_clause 0x1
	global_load_b64 v[59:60], v64, s[8:9] offset:23328
	global_load_b64 v[52:53], v64, s[8:9] offset:25272
	v_add_co_u32 v24, vcc_lo, v22, s12
	s_wait_alu 0xfffd
	v_add_co_ci_u32_e32 v25, vcc_lo, s13, v23, vcc_lo
	global_load_b64 v[48:49], v64, s[8:9] offset:33048
	v_add_co_u32 v26, vcc_lo, v24, s4
	s_wait_alu 0xfffd
	v_add_co_ci_u32_e32 v27, vcc_lo, s5, v25, vcc_lo
	global_load_b64 v[50:51], v64, s[8:9] offset:15552
	global_load_b64 v[18:19], v[18:19], off
	global_load_b64 v[20:21], v[20:21], off
	;; [unrolled: 1-line block ×4, first 2 shown]
	v_add_co_u32 v26, vcc_lo, v26, s4
	s_wait_alu 0xfffd
	v_add_co_ci_u32_e32 v27, vcc_lo, s5, v27, vcc_lo
	v_add_co_u32 v213, null, 0x6a5, v56
	v_add_co_u32 v220, null, 0x798, v56
	v_mov_b32_e32 v136, v56
	v_and_b32_e32 v132, 0xffff, v206
	v_and_b32_e32 v134, 0xffff, v218
	;; [unrolled: 1-line block ×3, first 2 shown]
	v_add_nc_u32_e32 v235, 0x4bc0, v64
	v_add_nc_u32_e32 v65, 0x1e00, v64
	v_and_b32_e32 v97, 0xffff, v234
	v_and_b32_e32 v135, 0xffff, v160
	;; [unrolled: 1-line block ×4, first 2 shown]
	s_wait_loadcnt 0x19
	v_dual_mul_f32 v30, v1, v47 :: v_dual_and_b32 v233, 0xffff, v220
	s_wait_loadcnt 0x18
	scratch_store_b64 off, v[34:35], off offset:16 ; 8-byte Folded Spill
	s_wait_loadcnt 0x17
	v_mul_f32_e32 v32, v3, v35
	v_mul_f32_e32 v31, v0, v47
	v_dual_mul_f32 v33, v2, v35 :: v_dual_fmac_f32 v30, v0, v46
	s_delay_alu instid0(VALU_DEP_3) | instskip(NEXT) | instid1(VALU_DEP_3)
	v_fmac_f32_e32 v32, v2, v34
	v_fma_f32 v31, v1, v46, -v31
	s_wait_loadcnt 0x16
	s_clause 0x1
	scratch_store_b64 off, v[42:43], off offset:200
	scratch_store_b64 off, v[46:47], off offset:216
	global_load_b64 v[46:47], v64, s[8:9] offset:40824
	s_wait_loadcnt 0x16
	v_mul_f32_e32 v1, v6, v43
	v_mul_f32_e32 v0, v7, v43
	v_fma_f32 v33, v3, v34, -v33
	global_load_b64 v[34:35], v64, s[8:9] offset:7776
	global_load_b64 v[2:3], v[24:25], off
	s_wait_loadcnt 0x17
	scratch_store_b64 off, v[44:45], off offset:208 ; 8-byte Folded Spill
	s_wait_loadcnt 0x15
	scratch_store_b64 off, v[40:41], off offset:192 ; 8-byte Folded Spill
	v_fmac_f32_e32 v0, v6, v42
	v_mul_f32_e32 v6, v5, v45
	v_fma_f32 v1, v7, v42, -v1
	v_mul_f32_e32 v7, v4, v45
	ds_store_b64 v64, v[32:33] offset:17496
	global_load_b64 v[32:33], v64, s[8:9] offset:42768
	v_fmac_f32_e32 v6, v4, v44
	s_wait_loadcnt 0x12
	scratch_store_b64 off, v[57:58], off offset:160 ; 8-byte Folded Spill
	s_wait_loadcnt 0x11
	scratch_store_b64 off, v[61:62], off offset:168 ; 8-byte Folded Spill
	v_fma_f32 v7, v5, v44, -v7
	s_clause 0x2
	scratch_store_b64 off, v[38:39], off offset:176
	scratch_store_b64 off, v[36:37], off offset:184
	;; [unrolled: 1-line block ×3, first 2 shown]
	s_wait_loadcnt 0x10
	v_mul_f32_e32 v5, v8, v39
	v_mul_f32_e32 v4, v9, v39
	ds_store_b64 v64, v[0:1] offset:34992
	global_load_b64 v[0:1], v[26:27], off
	s_wait_loadcnt 0x10
	v_mul_f32_e32 v25, v10, v41
	v_fma_f32 v5, v9, v38, -v5
	v_mul_f32_e32 v24, v11, v41
	v_fmac_f32_e32 v4, v8, v38
	s_wait_loadcnt 0xf
	v_mul_f32_e32 v9, v12, v58
	v_fma_f32 v25, v11, v40, -v25
	s_wait_loadcnt 0xe
	v_dual_mul_f32 v8, v13, v58 :: v_dual_mul_f32 v11, v14, v37
	s_delay_alu instid0(VALU_DEP_3)
	v_fma_f32 v9, v13, v57, -v9
	ds_store_2addr_b64 v64, v[30:31], v[6:7] offset1:243
	v_add_co_u32 v6, vcc_lo, v26, s12
	s_wait_loadcnt 0xd
	v_dual_mul_f32 v13, v16, v55 :: v_dual_fmac_f32 v24, v10, v40
	v_mul_f32_e32 v10, v15, v37
	s_wait_alu 0xfffd
	v_add_co_ci_u32_e32 v7, vcc_lo, s13, v27, vcc_lo
	v_fmac_f32_e32 v8, v12, v57
	global_load_b64 v[26:27], v64, s[8:9] offset:44712
	v_fma_f32 v11, v15, v36, -v11
	v_fmac_f32_e32 v10, v14, v36
	v_mul_f32_e32 v12, v17, v55
	v_fma_f32 v13, v17, v54, -v13
	v_add_nc_u32_e32 v15, 0x9000, v64
	v_add_nc_u32_e32 v17, 0xf00, v64
	ds_store_2addr_b64 v235, v[4:5], v[10:11] offset0:6 offset1:249
	s_wait_loadcnt 0x8
	v_mul_f32_e32 v11, v20, v60
	v_fmac_f32_e32 v12, v16, v54
	v_dual_mul_f32 v5, v18, v62 :: v_dual_mul_f32 v10, v21, v60
	v_mov_b32_e32 v190, v17
	s_delay_alu instid0(VALU_DEP_4)
	v_fma_f32 v11, v21, v59, -v11
	ds_store_2addr_b64 v15, v[24:25], v[12:13] offset0:9 offset1:252
	s_clause 0x1
	global_load_b64 v[15:16], v64, s[8:9] offset:27216
	global_load_b64 v[13:14], v64, s[8:9] offset:29160
	v_mul_f32_e32 v4, v19, v62
	v_fma_f32 v5, v19, v61, -v5
	s_clause 0x1
	scratch_store_b64 off, v[59:60], off offset:136
	scratch_store_b64 off, v[52:53], off offset:120
	v_fmac_f32_e32 v10, v20, v59
	v_fmac_f32_e32 v4, v18, v61
	v_add_nc_u32_e32 v24, 0x5b00, v64
	ds_store_2addr_b64 v17, v[8:9], v[4:5] offset0:6 offset1:249
	s_wait_loadcnt 0x8
	v_mul_f32_e32 v9, v28, v53
	s_delay_alu instid0(VALU_DEP_1)
	v_fma_f32 v9, v29, v52, -v9
	s_wait_loadcnt 0x7
	v_mul_f32_e32 v4, v23, v47
	scratch_store_b64 off, v[46:47], off offset:144 ; 8-byte Folded Spill
	v_mul_f32_e32 v5, v22, v47
	s_wait_loadcnt 0x5
	v_mul_f32_e32 v12, v2, v35
	v_fmac_f32_e32 v4, v22, v46
	s_clause 0x2
	global_load_b64 v[21:22], v64, s[8:9] offset:9720
	global_load_b64 v[19:20], v64, s[8:9] offset:11664
	;; [unrolled: 1-line block ×3, first 2 shown]
	v_mul_f32_e32 v8, v29, v53
	v_fma_f32 v5, v23, v46, -v5
	scratch_store_b64 off, v[34:35], off offset:128 ; 8-byte Folded Spill
	v_fmac_f32_e32 v8, v28, v52
	v_add_nc_u32_e32 v28, 0x9780, v64
	s_wait_loadcnt 0x7
	scratch_store_b64 off, v[32:33], off offset:104 ; 8-byte Folded Spill
	ds_store_2addr_b64 v24, v[10:11], v[8:9] offset0:4 offset1:247
	v_add_co_u32 v10, vcc_lo, v6, s4
	s_wait_alu 0xfffd
	v_add_co_ci_u32_e32 v11, vcc_lo, s5, v7, vcc_lo
	global_load_b64 v[6:7], v[6:7], off
	v_mul_f32_e32 v8, v3, v35
	v_fma_f32 v9, v3, v34, -v12
	s_wait_loadcnt 0x7
	v_dual_mul_f32 v3, v0, v33 :: v_dual_add_nc_u32 v12, 0x9f40, v64
	s_delay_alu instid0(VALU_DEP_3) | instskip(SKIP_1) | instid1(VALU_DEP_3)
	v_dual_mov_b32 v191, v28 :: v_dual_fmac_f32 v8, v2, v34
	v_mul_f32_e32 v2, v1, v33
	v_fma_f32 v3, v1, v32, -v3
	s_delay_alu instid0(VALU_DEP_2)
	v_fmac_f32_e32 v2, v0, v32
	v_add_co_u32 v0, vcc_lo, v10, s4
	s_wait_alu 0xfffd
	v_add_co_ci_u32_e32 v1, vcc_lo, s5, v11, vcc_lo
	ds_store_2addr_b64 v12, v[4:5], v[2:3] offset0:7 offset1:250
	v_add_co_u32 v4, vcc_lo, v0, s12
	s_wait_alu 0xfffd
	v_add_co_ci_u32_e32 v5, vcc_lo, s13, v1, vcc_lo
	global_load_b64 v[10:11], v[10:11], off
	global_load_b64 v[0:1], v[0:1], off
	s_wait_loadcnt 0x8
	scratch_store_b64 off, v[26:27], off offset:96 ; 8-byte Folded Spill
	s_wait_loadcnt 0x7
	scratch_store_b64 off, v[15:16], off offset:88 ; 8-byte Folded Spill
	;; [unrolled: 2-line block ×4, first 2 shown]
	s_wait_loadcnt 0x2
	v_mul_f32_e32 v2, v7, v22
	v_mul_f32_e32 v3, v6, v22
	s_delay_alu instid0(VALU_DEP_2) | instskip(SKIP_1) | instid1(VALU_DEP_3)
	v_fmac_f32_e32 v2, v6, v21
	v_add_co_u32 v6, vcc_lo, v4, s4
	v_fma_f32 v3, v7, v21, -v3
	s_wait_alu 0xfffd
	v_add_co_ci_u32_e32 v7, vcc_lo, s5, v5, vcc_lo
	ds_store_2addr_b64 v65, v[8:9], v[2:3] offset0:12 offset1:255
	global_load_b64 v[8:9], v[6:7], off
	s_wait_loadcnt 0x2
	v_mul_f32_e32 v2, v11, v16
	v_mul_f32_e32 v12, v10, v16
	s_delay_alu instid0(VALU_DEP_2) | instskip(NEXT) | instid1(VALU_DEP_2)
	v_fmac_f32_e32 v2, v10, v15
	v_fma_f32 v3, v11, v15, -v12
	global_load_b64 v[15:16], v64, s[8:9] offset:46656
	s_wait_loadcnt 0x1
	v_mul_f32_e32 v10, v8, v14
	s_delay_alu instid0(VALU_DEP_1) | instskip(SKIP_1) | instid1(VALU_DEP_1)
	v_fma_f32 v10, v9, v13, -v10
	v_mul_f32_e32 v9, v9, v14
	v_dual_fmac_f32 v9, v8, v13 :: v_dual_add_nc_u32 v8, 0x6a00, v64
	s_wait_loadcnt 0x0
	scratch_store_b64 off, v[15:16], off offset:56 ; 8-byte Folded Spill
	ds_store_2addr_b64 v8, v[2:3], v[9:10] offset0:10 offset1:253
	v_add_co_u32 v2, vcc_lo, v6, s4
	v_mov_b32_e32 v44, v8
	v_mul_f32_e32 v8, v0, v27
	s_wait_alu 0xfffd
	v_add_co_ci_u32_e32 v3, vcc_lo, s5, v7, vcc_lo
	v_mul_f32_e32 v6, v1, v27
	s_delay_alu instid0(VALU_DEP_3)
	v_fma_f32 v7, v1, v26, -v8
	global_load_b64 v[8:9], v[2:3], off
	s_clause 0x1
	global_load_b64 v[13:14], v64, s[8:9] offset:48600
	global_load_b64 v[11:12], v64, s[8:9] offset:50544
	v_fmac_f32_e32 v6, v0, v26
	s_clause 0x1
	scratch_store_b64 off, v[19:20], off offset:72
	scratch_store_b64 off, v[17:18], off offset:64
	s_wait_loadcnt 0x2
	v_mul_f32_e32 v0, v8, v16
	s_delay_alu instid0(VALU_DEP_1) | instskip(SKIP_1) | instid1(VALU_DEP_1)
	v_fma_f32 v1, v9, v15, -v0
	v_mul_f32_e32 v0, v9, v16
	v_fmac_f32_e32 v0, v8, v15
	v_add_nc_u32_e32 v8, 0xae80, v64
	ds_store_2addr_b64 v8, v[6:7], v[0:1] offset0:5 offset1:248
	v_add_co_u32 v0, vcc_lo, v2, s12
	s_wait_alu 0xfffd
	v_add_co_ci_u32_e32 v1, vcc_lo, s13, v3, vcc_lo
	global_load_b64 v[2:3], v[4:5], off
	global_load_b64 v[5:6], v[0:1], off
	v_add_co_u32 v0, vcc_lo, v0, s4
	s_wait_alu 0xfffd
	v_add_co_ci_u32_e32 v1, vcc_lo, s5, v1, vcc_lo
	s_wait_loadcnt 0x1
	v_mul_f32_e32 v4, v2, v20
	s_delay_alu instid0(VALU_DEP_1) | instskip(SKIP_2) | instid1(VALU_DEP_1)
	v_fma_f32 v4, v3, v19, -v4
	v_mul_f32_e32 v3, v3, v20
	s_wait_loadcnt 0x0
	v_dual_fmac_f32 v3, v2, v19 :: v_dual_mul_f32 v2, v5, v18
	s_delay_alu instid0(VALU_DEP_1) | instskip(SKIP_2) | instid1(VALU_DEP_2)
	v_fma_f32 v7, v6, v17, -v2
	v_mul_f32_e32 v6, v6, v18
	v_add_nc_u32_e32 v2, 0x2d80, v64
	v_fmac_f32_e32 v6, v5, v17
	s_delay_alu instid0(VALU_DEP_2)
	v_mov_b32_e32 v52, v2
	ds_store_2addr_b64 v2, v[3:4], v[6:7] offset0:2 offset1:245
	v_add_co_u32 v2, vcc_lo, v0, s4
	s_wait_alu 0xfffd
	v_add_co_ci_u32_e32 v3, vcc_lo, s5, v1, vcc_lo
	global_load_b64 v[0:1], v[0:1], off
	global_load_b64 v[6:7], v64, s[8:9] offset:31104
	s_clause 0x3
	scratch_store_b64 off, v[48:49], off offset:32
	scratch_store_b64 off, v[50:51], off offset:40
	;; [unrolled: 1-line block ×4, first 2 shown]
	v_mov_b32_e32 v155, v52
	s_wait_loadcnt 0x0
	v_mul_f32_e32 v4, v0, v7
	scratch_store_b64 off, v[6:7], off offset:24 ; 8-byte Folded Spill
	v_fma_f32 v5, v1, v6, -v4
	v_mul_f32_e32 v4, v1, v7
	s_delay_alu instid0(VALU_DEP_1)
	v_fmac_f32_e32 v4, v0, v6
	v_add_co_u32 v0, vcc_lo, v2, s12
	s_wait_alu 0xfffd
	v_add_co_ci_u32_e32 v1, vcc_lo, s13, v3, vcc_lo
	global_load_b64 v[2:3], v[2:3], off
	v_add_co_u32 v6, vcc_lo, v0, s4
	s_wait_alu 0xfffd
	v_add_co_ci_u32_e32 v7, vcc_lo, s5, v1, vcc_lo
	global_load_b64 v[0:1], v[0:1], off
	global_load_b64 v[8:9], v[6:7], off
	s_wait_loadcnt 0x0
	v_mul_f32_e32 v10, v8, v49
	s_delay_alu instid0(VALU_DEP_1) | instskip(SKIP_1) | instid1(VALU_DEP_1)
	v_fma_f32 v10, v9, v48, -v10
	v_mul_f32_e32 v9, v9, v49
	v_fmac_f32_e32 v9, v8, v48
	v_add_nc_u32_e32 v8, 0x7980, v64
	ds_store_2addr_b64 v8, v[4:5], v[9:10] offset1:243
	v_add_co_u32 v4, vcc_lo, v6, s4
	v_mul_f32_e32 v6, v2, v14
	s_wait_alu 0xfffd
	v_add_co_ci_u32_e32 v5, vcc_lo, s5, v7, vcc_lo
	v_add_nc_u32_e32 v10, 0x8880, v64
	v_mov_b32_e32 v58, v8
	v_fma_f32 v7, v3, v13, -v6
	v_mul_f32_e32 v6, v3, v14
	v_add_nc_u32_e32 v8, 0x3c80, v64
	s_load_b128 s[4:7], s[6:7], 0x0
	v_mov_b32_e32 v175, v10
	s_delay_alu instid0(VALU_DEP_3)
	v_fmac_f32_e32 v6, v2, v13
	global_load_b64 v[2:3], v[4:5], off
	v_mov_b32_e32 v153, v8
	s_wait_kmcnt 0x0
	s_mul_u64 s[2:3], s[4:5], s[2:3]
	s_wait_loadcnt 0x0
	v_mul_f32_e32 v4, v2, v12
	s_delay_alu instid0(VALU_DEP_1) | instskip(SKIP_1) | instid1(VALU_DEP_1)
	v_fma_f32 v4, v3, v11, -v4
	v_mul_f32_e32 v3, v3, v12
	v_dual_fmac_f32 v3, v2, v11 :: v_dual_add_nc_u32 v2, 0xbd80, v64
	v_mov_b32_e32 v36, v24
	ds_store_2addr_b64 v2, v[6:7], v[3:4] offset0:11 offset1:254
	v_mul_f32_e32 v2, v0, v51
	v_mov_b32_e32 v139, v36
	s_delay_alu instid0(VALU_DEP_2) | instskip(SKIP_1) | instid1(VALU_DEP_1)
	v_fma_f32 v2, v1, v50, -v2
	v_mul_f32_e32 v1, v1, v51
	v_fmac_f32_e32 v1, v0, v50
	ds_store_b64 v64, v[1:2] offset:15552
	global_wb scope:SCOPE_SE
	s_wait_storecnt_dscnt 0x0
	s_barrier_signal -1
	s_barrier_wait -1
	global_inv scope:SCOPE_SE
	ds_load_2addr_b64 v[0:3], v64 offset1:243
	ds_load_2addr_b64 v[4:7], v8 offset0:8 offset1:251
	ds_load_2addr_b64 v[12:15], v10 offset0:6 offset1:249
	s_wait_dscnt 0x0
	v_dual_add_f32 v8, v0, v6 :: v_dual_add_f32 v11, v7, v13
	v_dual_add_f32 v9, v1, v7 :: v_dual_add_f32 v10, v6, v12
	v_dual_sub_f32 v6, v6, v12 :: v_dual_sub_f32 v7, v7, v13
	s_delay_alu instid0(VALU_DEP_3) | instskip(NEXT) | instid1(VALU_DEP_3)
	v_fma_f32 v1, -0.5, v11, v1
	v_add_f32_e32 v9, v9, v13
	s_delay_alu instid0(VALU_DEP_4) | instskip(SKIP_1) | instid1(VALU_DEP_4)
	v_fma_f32 v0, -0.5, v10, v0
	v_add_nc_u32_e32 v13, 0xa700, v64
	v_dual_add_f32 v8, v8, v12 :: v_dual_fmamk_f32 v11, v6, 0xbf5db3d7, v1
	v_fmac_f32_e32 v1, 0x3f5db3d7, v6
	v_mul_lo_u16 v6, v96, 3
	v_fmamk_f32 v10, v7, 0x3f5db3d7, v0
	v_fmac_f32_e32 v0, 0xbf5db3d7, v7
	v_mov_b32_e32 v138, v13
	s_delay_alu instid0(VALU_DEP_4) | instskip(NEXT) | instid1(VALU_DEP_1)
	v_and_b32_e32 v6, 0xffff, v6
	v_lshlrev_b32_e32 v57, 3, v6
	scratch_store_b32 off, v57, off offset:260 ; 4-byte Folded Spill
	ds_load_b64 v[6:7], v64 offset:50544
	ds_load_2addr_b64 v[16:19], v235 offset0:6 offset1:249
	ds_load_2addr_b64 v[20:23], v190 offset0:6 offset1:249
	;; [unrolled: 1-line block ×7, first 2 shown]
	v_add_nc_u32_e32 v12, 0xb600, v64
	ds_load_2addr_b64 v[48:51], v12 offset0:8 offset1:251
	v_mov_b32_e32 v140, v44
	ds_load_2addr_b64 v[44:47], v52 offset0:2 offset1:245
	v_mov_b32_e32 v137, v12
	ds_load_2addr_b64 v[52:55], v58 offset1:243
	global_wb scope:SCOPE_SE
	s_wait_storecnt_dscnt 0x0
	s_barrier_signal -1
	s_barrier_wait -1
	global_inv scope:SCOPE_SE
	ds_store_2addr_b64 v57, v[8:9], v[10:11] offset1:1
	v_add_f32_e32 v10, v16, v14
	v_add_f32_e32 v12, v17, v15
	v_dual_add_f32 v8, v2, v16 :: v_dual_add_f32 v9, v3, v17
	v_sub_f32_e32 v11, v17, v15
	v_sub_f32_e32 v13, v16, v14
	v_fma_f32 v2, -0.5, v10, v2
	v_fmac_f32_e32 v3, -0.5, v12
	v_mul_u32_u24_e32 v10, 3, v234
	v_dual_add_f32 v8, v8, v14 :: v_dual_add_f32 v9, v9, v15
	ds_store_b64 v57, v[0:1] offset:16
	v_fmamk_f32 v0, v11, 0x3f5db3d7, v2
	v_dual_fmamk_f32 v1, v13, 0xbf5db3d7, v3 :: v_dual_lshlrev_b32 v10, 3, v10
	v_fmac_f32_e32 v2, 0xbf5db3d7, v11
	v_fmac_f32_e32 v3, 0x3f5db3d7, v13
	v_sub_f32_e32 v11, v28, v26
	scratch_store_b32 off, v10, off offset:244 ; 4-byte Folded Spill
	ds_store_2addr_b64 v10, v[8:9], v[0:1] offset1:1
	ds_store_b64 v10, v[2:3] offset:16
	v_dual_add_f32 v0, v18, v24 :: v_dual_add_f32 v1, v19, v25
	v_dual_sub_f32 v9, v19, v25 :: v_dual_sub_f32 v10, v18, v24
	v_add_f32_e32 v2, v20, v18
	s_delay_alu instid0(VALU_DEP_3) | instskip(NEXT) | instid1(VALU_DEP_4)
	v_fma_f32 v0, -0.5, v0, v20
	v_fma_f32 v1, -0.5, v1, v21
	s_delay_alu instid0(VALU_DEP_3) | instskip(NEXT) | instid1(VALU_DEP_3)
	v_dual_add_f32 v3, v21, v19 :: v_dual_add_f32 v2, v2, v24
	v_fmamk_f32 v8, v9, 0x3f5db3d7, v0
	s_delay_alu instid0(VALU_DEP_3) | instskip(SKIP_2) | instid1(VALU_DEP_1)
	v_dual_fmac_f32 v0, 0xbf5db3d7, v9 :: v_dual_fmamk_f32 v9, v10, 0xbf5db3d7, v1
	v_fmac_f32_e32 v1, 0x3f5db3d7, v10
	v_mul_u32_u24_e32 v10, 3, v160
	v_dual_add_f32 v3, v3, v25 :: v_dual_lshlrev_b32 v12, 3, v10
	v_add_f32_e32 v10, v29, v27
	ds_store_2addr_b64 v12, v[2:3], v[8:9] offset1:1
	ds_store_b64 v12, v[0:1] offset:16
	v_add_f32_e32 v8, v28, v26
	v_dual_add_f32 v2, v22, v28 :: v_dual_add_f32 v3, v23, v29
	v_sub_f32_e32 v9, v29, v27
	v_fmac_f32_e32 v23, -0.5, v10
	s_delay_alu instid0(VALU_DEP_4) | instskip(SKIP_2) | instid1(VALU_DEP_4)
	v_fma_f32 v22, -0.5, v8, v22
	v_mul_u32_u24_e32 v8, 3, v206
	v_dual_add_f32 v2, v2, v26 :: v_dual_add_f32 v3, v3, v27
	v_fmamk_f32 v1, v11, 0xbf5db3d7, v23
	s_delay_alu instid0(VALU_DEP_4) | instskip(NEXT) | instid1(VALU_DEP_4)
	v_fmamk_f32 v0, v9, 0x3f5db3d7, v22
	v_lshlrev_b32_e32 v8, 3, v8
	v_fmac_f32_e32 v22, 0xbf5db3d7, v9
	v_fmac_f32_e32 v23, 0x3f5db3d7, v11
	scratch_store_b32 off, v12, off offset:256 ; 4-byte Folded Spill
	v_sub_f32_e32 v9, v31, v37
	scratch_store_b32 off, v8, off offset:240 ; 4-byte Folded Spill
	ds_store_2addr_b64 v8, v[2:3], v[0:1] offset1:1
	ds_store_b64 v8, v[22:23] offset:16
	v_dual_add_f32 v0, v30, v36 :: v_dual_add_f32 v1, v31, v37
	v_sub_f32_e32 v10, v30, v36
	v_dual_add_f32 v2, v32, v30 :: v_dual_add_f32 v3, v33, v31
	s_delay_alu instid0(VALU_DEP_3) | instskip(NEXT) | instid1(VALU_DEP_4)
	v_fma_f32 v0, -0.5, v0, v32
	v_fma_f32 v1, -0.5, v1, v33
	s_delay_alu instid0(VALU_DEP_3) | instskip(NEXT) | instid1(VALU_DEP_3)
	v_dual_sub_f32 v11, v40, v38 :: v_dual_add_f32 v2, v2, v36
	v_dual_add_f32 v3, v3, v37 :: v_dual_fmamk_f32 v8, v9, 0x3f5db3d7, v0
	s_delay_alu instid0(VALU_DEP_3) | instskip(SKIP_2) | instid1(VALU_DEP_1)
	v_dual_fmac_f32 v0, 0xbf5db3d7, v9 :: v_dual_fmamk_f32 v9, v10, 0xbf5db3d7, v1
	v_fmac_f32_e32 v1, 0x3f5db3d7, v10
	v_mul_u32_u24_e32 v10, 3, v211
	v_dual_mov_b32 v141, v58 :: v_dual_lshlrev_b32 v12, 3, v10
	v_add_f32_e32 v10, v41, v39
	ds_store_2addr_b64 v12, v[2:3], v[8:9] offset1:1
	ds_store_b64 v12, v[0:1] offset:16
	v_add_f32_e32 v8, v40, v38
	v_dual_add_f32 v2, v34, v40 :: v_dual_add_f32 v3, v35, v41
	v_sub_f32_e32 v9, v41, v39
	v_fmac_f32_e32 v35, -0.5, v10
	s_delay_alu instid0(VALU_DEP_4) | instskip(SKIP_2) | instid1(VALU_DEP_4)
	v_fma_f32 v34, -0.5, v8, v34
	v_mul_u32_u24_e32 v8, 3, v218
	v_dual_add_f32 v2, v2, v38 :: v_dual_add_f32 v3, v3, v39
	v_fmamk_f32 v1, v11, 0xbf5db3d7, v35
	s_delay_alu instid0(VALU_DEP_4) | instskip(NEXT) | instid1(VALU_DEP_4)
	v_fmamk_f32 v0, v9, 0x3f5db3d7, v34
	v_lshlrev_b32_e32 v8, 3, v8
	v_fmac_f32_e32 v34, 0xbf5db3d7, v9
	v_fmac_f32_e32 v35, 0x3f5db3d7, v11
	scratch_store_b32 off, v12, off offset:252 ; 4-byte Folded Spill
	v_sub_f32_e32 v9, v43, v49
	scratch_store_b32 off, v8, off offset:236 ; 4-byte Folded Spill
	ds_store_2addr_b64 v8, v[2:3], v[0:1] offset1:1
	ds_store_b64 v8, v[34:35] offset:16
	v_dual_add_f32 v0, v42, v48 :: v_dual_add_f32 v1, v43, v49
	v_sub_f32_e32 v10, v42, v48
	v_dual_add_f32 v2, v44, v42 :: v_dual_add_f32 v3, v45, v43
	s_delay_alu instid0(VALU_DEP_3) | instskip(NEXT) | instid1(VALU_DEP_4)
	v_fma_f32 v0, -0.5, v0, v44
	v_fma_f32 v1, -0.5, v1, v45
	s_delay_alu instid0(VALU_DEP_3) | instskip(NEXT) | instid1(VALU_DEP_3)
	v_dual_sub_f32 v11, v52, v50 :: v_dual_add_f32 v2, v2, v48
	v_dual_add_f32 v3, v3, v49 :: v_dual_fmamk_f32 v8, v9, 0x3f5db3d7, v0
	s_delay_alu instid0(VALU_DEP_3) | instskip(SKIP_2) | instid1(VALU_DEP_1)
	v_dual_fmac_f32 v0, 0xbf5db3d7, v9 :: v_dual_fmamk_f32 v9, v10, 0xbf5db3d7, v1
	v_fmac_f32_e32 v1, 0x3f5db3d7, v10
	v_mul_u32_u24_e32 v10, 3, v212
	v_lshlrev_b32_e32 v12, 3, v10
	v_add_f32_e32 v10, v53, v51
	ds_store_2addr_b64 v12, v[2:3], v[8:9] offset1:1
	ds_store_b64 v12, v[0:1] offset:16
	v_add_f32_e32 v8, v52, v50
	v_dual_add_f32 v2, v46, v52 :: v_dual_add_f32 v3, v47, v53
	v_sub_f32_e32 v9, v53, v51
	v_fmac_f32_e32 v47, -0.5, v10
	s_delay_alu instid0(VALU_DEP_4) | instskip(SKIP_2) | instid1(VALU_DEP_4)
	v_fma_f32 v46, -0.5, v8, v46
	v_mul_u32_u24_e32 v8, 3, v213
	v_dual_add_f32 v2, v2, v50 :: v_dual_add_f32 v3, v3, v51
	v_fmamk_f32 v1, v11, 0xbf5db3d7, v47
	s_delay_alu instid0(VALU_DEP_4) | instskip(NEXT) | instid1(VALU_DEP_4)
	v_fmamk_f32 v0, v9, 0x3f5db3d7, v46
	v_lshlrev_b32_e32 v8, 3, v8
	v_fmac_f32_e32 v46, 0xbf5db3d7, v9
	v_fmac_f32_e32 v47, 0x3f5db3d7, v11
	scratch_store_b32 off, v12, off offset:248 ; 4-byte Folded Spill
	v_sub_f32_e32 v9, v54, v6
	scratch_store_b32 off, v8, off offset:232 ; 4-byte Folded Spill
	ds_store_2addr_b64 v8, v[2:3], v[0:1] offset1:1
	ds_store_b64 v8, v[46:47] offset:16
	v_add_f32_e32 v0, v4, v54
	v_add_f32_e32 v2, v54, v6
	;; [unrolled: 1-line block ×4, first 2 shown]
	s_delay_alu instid0(VALU_DEP_4) | instskip(NEXT) | instid1(VALU_DEP_4)
	v_dual_sub_f32 v3, v55, v7 :: v_dual_add_f32 v0, v0, v6
	v_fma_f32 v4, -0.5, v2, v4
	s_delay_alu instid0(VALU_DEP_4) | instskip(SKIP_1) | instid1(VALU_DEP_3)
	v_fmac_f32_e32 v5, -0.5, v8
	v_mul_u32_u24_e32 v6, 3, v220
	v_dual_add_f32 v1, v1, v7 :: v_dual_fmamk_f32 v2, v3, 0x3f5db3d7, v4
	s_delay_alu instid0(VALU_DEP_3) | instskip(NEXT) | instid1(VALU_DEP_3)
	v_dual_fmac_f32 v4, 0xbf5db3d7, v3 :: v_dual_fmamk_f32 v3, v9, 0xbf5db3d7, v5
	v_dual_fmac_f32 v5, 0x3f5db3d7, v9 :: v_dual_lshlrev_b32 v6, 3, v6
	s_clause 0x1
	scratch_store_b32 off, v136, off offset:224
	scratch_store_b32 off, v6, off offset:228
	ds_store_2addr_b64 v6, v[0:1], v[2:3] offset1:1
	ds_store_b64 v6, v[4:5] offset:16
	v_mul_u32_u24_e32 v0, 0xaaab, v97
	global_wb scope:SCOPE_SE
	s_wait_storecnt_dscnt 0x0
	s_barrier_signal -1
	s_barrier_wait -1
	global_inv scope:SCOPE_SE
	v_lshrrev_b32_e32 v32, 17, v0
	v_mul_lo_u16 v0, 0xab, v98
	s_delay_alu instid0(VALU_DEP_1) | instskip(NEXT) | instid1(VALU_DEP_3)
	v_lshrrev_b16 v34, 9, v0
	v_mul_lo_u16 v0, v32, 3
	s_delay_alu instid0(VALU_DEP_1) | instskip(NEXT) | instid1(VALU_DEP_3)
	v_sub_nc_u16 v33, v234, v0
	v_mul_lo_u16 v0, v34, 3
	s_delay_alu instid0(VALU_DEP_2) | instskip(NEXT) | instid1(VALU_DEP_2)
	v_lshlrev_b16 v1, 1, v33
	v_sub_nc_u16 v0, v96, v0
	s_delay_alu instid0(VALU_DEP_2) | instskip(NEXT) | instid1(VALU_DEP_2)
	v_and_b32_e32 v1, 0xffff, v1
	v_and_b32_e32 v35, 0xff, v0
	s_delay_alu instid0(VALU_DEP_2) | instskip(NEXT) | instid1(VALU_DEP_2)
	v_lshlrev_b32_e32 v4, 3, v1
	v_lshlrev_b32_e32 v0, 4, v35
	s_clause 0x1
	global_load_b128 v[44:47], v0, s[10:11]
	global_load_b128 v[3:6], v4, s[10:11]
	ds_load_2addr_b64 v[12:15], v175 offset0:6 offset1:249
	s_wait_loadcnt_dscnt 0x0
	v_dual_mul_f32 v0, v13, v47 :: v_dual_mul_f32 v1, v15, v6
	v_mul_f32_e32 v9, v14, v6
	scratch_store_b128 off, v[44:47], off offset:364 ; 16-byte Folded Spill
	v_fma_f32 v2, v12, v46, -v0
	v_fma_f32 v8, v14, v5, -v1
	v_mul_u32_u24_e32 v1, 0xaaab, v135
	v_fmac_f32_e32 v9, v15, v5
	ds_load_2addr_b64 v[14:17], v235 offset0:6 offset1:249
	v_dual_mul_f32 v0, v12, v47 :: v_dual_mov_b32 v7, v6
	v_lshrrev_b32_e32 v10, 17, v1
	v_mul_u32_u24_e32 v1, 0xaaab, v132
	v_mov_b32_e32 v6, v5
	s_delay_alu instid0(VALU_DEP_4) | instskip(SKIP_1) | instid1(VALU_DEP_4)
	v_dual_fmac_f32 v0, v13, v46 :: v_dual_mov_b32 v5, v4
	v_mov_b32_e32 v4, v3
	v_lshrrev_b32_e32 v11, 17, v1
	v_mul_lo_u16 v1, v10, 3
	v_mov_b32_e32 v21, v7
	v_dual_mov_b32 v19, v5 :: v_dual_mov_b32 v20, v6
	v_mov_b32_e32 v18, v4
	s_delay_alu instid0(VALU_DEP_4)
	v_sub_nc_u16 v12, v160, v1
	v_mul_lo_u16 v1, v11, 3
	scratch_store_b128 off, v[18:21], off offset:264 ; 16-byte Folded Spill
	s_wait_dscnt 0x0
	v_mul_f32_e32 v4, v15, v19
	v_sub_nc_u16 v13, v206, v1
	v_lshlrev_b16 v1, 1, v12
	s_delay_alu instid0(VALU_DEP_3) | instskip(NEXT) | instid1(VALU_DEP_3)
	v_fma_f32 v20, v14, v18, -v4
	v_lshlrev_b16 v3, 1, v13
	s_delay_alu instid0(VALU_DEP_3) | instskip(NEXT) | instid1(VALU_DEP_2)
	v_dual_mul_f32 v14, v14, v19 :: v_dual_and_b32 v1, 0xffff, v1
	v_and_b32_e32 v3, 0xffff, v3
	s_delay_alu instid0(VALU_DEP_2) | instskip(NEXT) | instid1(VALU_DEP_2)
	v_dual_fmac_f32 v14, v15, v18 :: v_dual_lshlrev_b32 v1, 3, v1
	v_lshlrev_b32_e32 v3, 3, v3
	s_clause 0x1
	global_load_b128 v[4:7], v1, s[10:11]
	global_load_b128 v[22:25], v3, s[10:11]
	s_wait_loadcnt 0x1
	v_mul_f32_e32 v1, v17, v5
	v_mul_f32_e32 v21, v16, v5
	scratch_store_b128 off, v[4:7], off offset:280 ; 16-byte Folded Spill
	v_fma_f32 v15, v16, v4, -v1
	v_fmac_f32_e32 v21, v17, v4
	ds_load_2addr_b64 v[16:19], v191 offset0:12 offset1:255
	s_wait_dscnt 0x0
	v_mul_f32_e32 v1, v17, v7
	s_delay_alu instid0(VALU_DEP_1) | instskip(SKIP_2) | instid1(VALU_DEP_1)
	v_fma_f32 v28, v16, v6, -v1
	s_wait_loadcnt 0x0
	v_dual_mul_f32 v16, v16, v7 :: v_dual_mul_f32 v1, v19, v25
	v_fmac_f32_e32 v16, v17, v6
	s_delay_alu instid0(VALU_DEP_2) | instskip(SKIP_4) | instid1(VALU_DEP_4)
	v_fma_f32 v17, v18, v24, -v1
	v_mul_f32_e32 v18, v18, v25
	v_mul_u32_u24_e32 v1, 0xaaab, v133
	v_dual_mov_b32 v4, v22 :: v_dual_mov_b32 v5, v23
	v_mov_b32_e32 v6, v24
	v_fmac_f32_e32 v18, v19, v24
	s_delay_alu instid0(VALU_DEP_4)
	v_lshrrev_b32_e32 v19, 17, v1
	v_mul_u32_u24_e32 v1, 0xaaab, v134
	v_mov_b32_e32 v7, v25
	ds_load_2addr_b64 v[22:25], v139 offset0:4 offset1:247
	v_lshrrev_b32_e32 v29, 17, v1
	v_mul_lo_u16 v1, v19, 3
	v_mov_b32_e32 v39, v7
	v_dual_mov_b32 v37, v5 :: v_dual_mov_b32 v38, v6
	v_mov_b32_e32 v36, v4
	s_delay_alu instid0(VALU_DEP_4)
	v_sub_nc_u16 v30, v211, v1
	v_mul_lo_u16 v1, v29, 3
	scratch_store_b128 off, v[36:39], off offset:296 ; 16-byte Folded Spill
	v_sub_nc_u16 v31, v218, v1
	v_lshlrev_b16 v1, 1, v30
	s_wait_dscnt 0x0
	v_mul_f32_e32 v4, v23, v37
	s_delay_alu instid0(VALU_DEP_2) | instskip(SKIP_1) | instid1(VALU_DEP_3)
	v_and_b32_e32 v1, 0xffff, v1
	v_lshlrev_b16 v3, 1, v31
	v_fma_f32 v40, v22, v36, -v4
	s_delay_alu instid0(VALU_DEP_3) | instskip(NEXT) | instid1(VALU_DEP_3)
	v_lshlrev_b32_e32 v1, 3, v1
	v_dual_mul_f32 v22, v22, v37 :: v_dual_and_b32 v3, 0xffff, v3
	global_load_b128 v[4:7], v1, s[10:11]
	v_dual_fmac_f32 v22, v23, v36 :: v_dual_lshlrev_b32 v3, 3, v3
	ds_load_2addr_b64 v[36:39], v140 offset0:10 offset1:253
	global_load_b128 v[48:51], v3, s[10:11]
	s_wait_loadcnt 0x1
	v_mul_f32_e32 v1, v25, v5
	v_mul_f32_e32 v41, v24, v5
	scratch_store_b128 off, v[4:7], off offset:320 ; 16-byte Folded Spill
	v_fma_f32 v23, v24, v4, -v1
	v_fmac_f32_e32 v41, v25, v4
	ds_load_2addr_b64 v[24:27], v138 offset0:2 offset1:245
	s_wait_loadcnt_dscnt 0x1
	v_mul_f32_e32 v4, v37, v49
	v_mul_f32_e32 v63, v36, v49
	scratch_store_b128 off, v[48:51], off offset:380 ; 16-byte Folded Spill
	v_fma_f32 v62, v36, v48, -v4
	v_fmac_f32_e32 v63, v37, v48
	s_wait_dscnt 0x0
	v_mul_f32_e32 v1, v25, v7
	s_delay_alu instid0(VALU_DEP_1) | instskip(SKIP_1) | instid1(VALU_DEP_1)
	v_fma_f32 v42, v24, v6, -v1
	v_mul_f32_e32 v24, v24, v7
	v_dual_mul_f32 v1, v27, v51 :: v_dual_fmac_f32 v24, v25, v6
	s_delay_alu instid0(VALU_DEP_1) | instskip(SKIP_2) | instid1(VALU_DEP_2)
	v_fma_f32 v25, v26, v50, -v1
	v_mul_f32_e32 v26, v26, v51
	v_mul_u32_u24_e32 v1, 0xaaab, v162
	v_fmac_f32_e32 v26, v27, v50
	s_delay_alu instid0(VALU_DEP_2) | instskip(SKIP_1) | instid1(VALU_DEP_1)
	v_lshrrev_b32_e32 v27, 17, v1
	v_mul_u32_u24_e32 v1, 0xaaab, v161
	v_lshrrev_b32_e32 v43, 17, v1
	s_delay_alu instid0(VALU_DEP_3) | instskip(NEXT) | instid1(VALU_DEP_1)
	v_mul_lo_u16 v1, v27, 3
	v_sub_nc_u16 v60, v212, v1
	s_delay_alu instid0(VALU_DEP_3) | instskip(NEXT) | instid1(VALU_DEP_1)
	v_mul_lo_u16 v1, v43, 3
	v_sub_nc_u16 v61, v213, v1
	s_delay_alu instid0(VALU_DEP_3) | instskip(NEXT) | instid1(VALU_DEP_2)
	v_lshlrev_b16 v1, 1, v60
	v_lshlrev_b16 v3, 1, v61
	s_delay_alu instid0(VALU_DEP_2) | instskip(NEXT) | instid1(VALU_DEP_2)
	v_and_b32_e32 v1, 0xffff, v1
	v_and_b32_e32 v3, 0xffff, v3
	s_delay_alu instid0(VALU_DEP_2) | instskip(NEXT) | instid1(VALU_DEP_2)
	v_lshlrev_b32_e32 v1, 3, v1
	v_lshlrev_b32_e32 v3, 3, v3
	global_load_b128 v[4:7], v1, s[10:11]
	v_lshlrev_b32_e32 v219, 4, v136
	global_load_b128 v[48:51], v3, s[10:11]
	s_wait_loadcnt 0x1
	v_mul_f32_e32 v1, v39, v5
	v_mul_f32_e32 v67, v38, v5
	scratch_store_b128 off, v[4:7], off offset:396 ; 16-byte Folded Spill
	s_wait_loadcnt 0x0
	scratch_store_b128 off, v[48:51], off offset:412 ; 16-byte Folded Spill
	v_fma_f32 v66, v38, v4, -v1
	v_fmac_f32_e32 v67, v39, v4
	ds_load_2addr_b64 v[36:39], v137 offset0:8 offset1:251
	s_wait_dscnt 0x0
	v_mul_f32_e32 v1, v37, v7
	v_mul_f32_e32 v69, v36, v7
	;; [unrolled: 1-line block ×3, first 2 shown]
	s_delay_alu instid0(VALU_DEP_3) | instskip(SKIP_1) | instid1(VALU_DEP_4)
	v_fma_f32 v68, v36, v6, -v1
	v_mul_f32_e32 v1, v39, v51
	v_fmac_f32_e32 v69, v37, v6
	s_delay_alu instid0(VALU_DEP_4) | instskip(NEXT) | instid1(VALU_DEP_3)
	v_fmac_f32_e32 v71, v39, v50
	v_fma_f32 v70, v38, v50, -v1
	v_mul_u32_u24_e32 v1, 0xaaab, v233
	ds_load_2addr_b64 v[36:39], v58 offset1:243
	v_lshrrev_b32_e32 v72, 17, v1
	s_delay_alu instid0(VALU_DEP_1) | instskip(NEXT) | instid1(VALU_DEP_1)
	v_mul_lo_u16 v1, v72, 3
	v_sub_nc_u16 v73, v220, v1
	s_delay_alu instid0(VALU_DEP_1) | instskip(SKIP_3) | instid1(VALU_DEP_3)
	v_lshlrev_b16 v1, 1, v73
	s_wait_dscnt 0x0
	v_mul_f32_e32 v3, v37, v49
	v_mul_f32_e32 v75, v36, v49
	v_and_b32_e32 v1, 0xffff, v1
	s_delay_alu instid0(VALU_DEP_3) | instskip(NEXT) | instid1(VALU_DEP_3)
	v_fma_f32 v74, v36, v48, -v3
	v_fmac_f32_e32 v75, v37, v48
	s_delay_alu instid0(VALU_DEP_3)
	v_lshlrev_b32_e32 v1, 3, v1
	global_load_b128 v[3:6], v1, s[10:11]
	s_wait_loadcnt 0x0
	v_mul_f32_e32 v1, v39, v4
	v_mul_f32_e32 v77, v38, v4
	v_dual_mov_b32 v81, v6 :: v_dual_mov_b32 v80, v5
	v_mov_b32_e32 v79, v4
	s_delay_alu instid0(VALU_DEP_4) | instskip(NEXT) | instid1(VALU_DEP_4)
	v_fma_f32 v76, v38, v3, -v1
	v_fmac_f32_e32 v77, v39, v3
	ds_load_2addr_b64 v[36:39], v153 offset0:8 offset1:251
	v_mov_b32_e32 v78, v3
	s_wait_dscnt 0x0
	v_mul_f32_e32 v1, v39, v45
	s_delay_alu instid0(VALU_DEP_1) | instskip(SKIP_1) | instid1(VALU_DEP_1)
	v_fma_f32 v3, v38, v44, -v1
	v_mul_f32_e32 v1, v38, v45
	v_fmac_f32_e32 v1, v39, v44
	ds_load_2addr_b64 v[44:47], v64 offset1:243
	v_sub_f32_e32 v39, v3, v2
	ds_load_b64 v[6:7], v64 offset:50544
	ds_load_2addr_b64 v[48:51], v190 offset0:6 offset1:249
	ds_load_2addr_b64 v[52:55], v65 offset0:12 offset1:255
	;; [unrolled: 1-line block ×3, first 2 shown]
	global_wb scope:SCOPE_SE
	s_wait_storecnt_dscnt 0x0
	v_sub_f32_e32 v38, v1, v0
	v_add_f32_e32 v5, v1, v0
	s_barrier_signal -1
	s_barrier_wait -1
	global_inv scope:SCOPE_SE
	v_add_f32_e32 v4, v45, v1
	s_delay_alu instid0(VALU_DEP_1) | instskip(SKIP_3) | instid1(VALU_DEP_3)
	v_add_f32_e32 v1, v4, v0
	v_add_f32_e32 v0, v44, v3
	;; [unrolled: 1-line block ×3, first 2 shown]
	v_fma_f32 v3, -0.5, v5, v45
	v_add_f32_e32 v0, v0, v2
	s_delay_alu instid0(VALU_DEP_3) | instskip(SKIP_1) | instid1(VALU_DEP_4)
	v_fma_f32 v2, -0.5, v4, v44
	v_and_b32_e32 v4, 0xffff, v34
	v_fmamk_f32 v5, v39, 0xbf5db3d7, v3
	v_fmac_f32_e32 v3, 0x3f5db3d7, v39
	s_delay_alu instid0(VALU_DEP_3) | instskip(NEXT) | instid1(VALU_DEP_1)
	v_mul_u32_u24_e32 v4, 9, v4
	v_add_lshl_u32 v34, v4, v35, 3
	v_fmamk_f32 v4, v38, 0x3f5db3d7, v2
	v_fmac_f32_e32 v2, 0xbf5db3d7, v38
	ds_store_2addr_b64 v34, v[0:1], v[4:5] offset1:3
	v_add_f32_e32 v0, v47, v14
	ds_store_b64 v34, v[2:3] offset:48
	v_mad_u16 v2, v32, 9, v33
	v_add_f32_e32 v3, v14, v9
	v_add_f32_e32 v5, v20, v8
	v_dual_add_f32 v1, v0, v9 :: v_dual_add_f32 v0, v46, v20
	s_delay_alu instid0(VALU_DEP_3) | instskip(NEXT) | instid1(VALU_DEP_3)
	v_dual_sub_f32 v4, v14, v9 :: v_dual_fmac_f32 v47, -0.5, v3
	v_fma_f32 v46, -0.5, v5, v46
	v_and_b32_e32 v2, 0xffff, v2
	s_delay_alu instid0(VALU_DEP_4) | instskip(SKIP_2) | instid1(VALU_DEP_4)
	v_add_f32_e32 v0, v0, v8
	v_sub_f32_e32 v8, v20, v8
	v_sub_f32_e32 v9, v15, v28
	v_dual_fmamk_f32 v2, v4, 0x3f5db3d7, v46 :: v_dual_lshlrev_b32 v5, 3, v2
	s_delay_alu instid0(VALU_DEP_3)
	v_dual_fmamk_f32 v3, v8, 0xbf5db3d7, v47 :: v_dual_fmac_f32 v46, 0xbf5db3d7, v4
	v_mad_u16 v4, v10, 9, v12
	v_fmac_f32_e32 v47, 0x3f5db3d7, v8
	scratch_store_b128 off, v[78:81], off offset:492 ; 16-byte Folded Spill
	ds_store_2addr_b64 v5, v[0:1], v[2:3] offset1:3
	v_add_f32_e32 v3, v21, v16
	v_add_f32_e32 v0, v49, v21
	;; [unrolled: 1-line block ×3, first 2 shown]
	v_and_b32_e32 v4, 0xffff, v4
	ds_store_b64 v5, v[46:47] offset:48
	v_fma_f32 v3, -0.5, v3, v49
	v_add_f32_e32 v1, v0, v16
	v_add_f32_e32 v0, v48, v15
	v_fma_f32 v2, -0.5, v2, v48
	v_lshlrev_b32_e32 v10, 3, v4
	s_clause 0x1
	scratch_store_b32 off, v34, off offset:360
	scratch_store_b32 off, v5, off offset:356
	v_fmamk_f32 v5, v9, 0xbf5db3d7, v3
	v_fmac_f32_e32 v3, 0x3f5db3d7, v9
	v_dual_sub_f32 v9, v23, v42 :: v_dual_sub_f32 v8, v21, v16
	v_add_f32_e32 v0, v0, v28
	s_delay_alu instid0(VALU_DEP_2)
	v_fmamk_f32 v4, v8, 0x3f5db3d7, v2
	v_fmac_f32_e32 v2, 0xbf5db3d7, v8
	v_sub_f32_e32 v8, v40, v17
	ds_store_2addr_b64 v10, v[0:1], v[4:5] offset1:3
	ds_store_b64 v10, v[2:3] offset:48
	v_mad_u16 v2, v11, 9, v13
	v_add_f32_e32 v0, v51, v22
	v_add_f32_e32 v3, v22, v18
	v_dual_add_f32 v5, v40, v17 :: v_dual_sub_f32 v4, v22, v18
	s_delay_alu instid0(VALU_DEP_4) | instskip(NEXT) | instid1(VALU_DEP_4)
	v_and_b32_e32 v2, 0xffff, v2
	v_dual_add_f32 v1, v0, v18 :: v_dual_add_f32 v0, v50, v40
	s_delay_alu instid0(VALU_DEP_3) | instskip(SKIP_1) | instid1(VALU_DEP_4)
	v_fma_f32 v50, -0.5, v5, v50
	v_fmac_f32_e32 v51, -0.5, v3
	v_lshlrev_b32_e32 v5, 3, v2
	scratch_store_b32 off, v10, off offset:352 ; 4-byte Folded Spill
	v_add_f32_e32 v0, v0, v17
	v_fmamk_f32 v2, v4, 0x3f5db3d7, v50
	v_fmamk_f32 v3, v8, 0xbf5db3d7, v51
	v_fmac_f32_e32 v51, 0x3f5db3d7, v8
	v_sub_f32_e32 v8, v41, v24
	ds_store_2addr_b64 v5, v[0:1], v[2:3] offset1:3
	v_add_f32_e32 v0, v53, v41
	v_dual_add_f32 v3, v41, v24 :: v_dual_add_f32 v2, v23, v42
	s_delay_alu instid0(VALU_DEP_2)
	v_add_f32_e32 v1, v0, v24
	v_fmac_f32_e32 v50, 0xbf5db3d7, v4
	v_mad_u16 v4, v19, 9, v30
	v_add_f32_e32 v0, v52, v23
	v_fma_f32 v2, -0.5, v2, v52
	v_fma_f32 v3, -0.5, v3, v53
	ds_store_b64 v5, v[50:51] offset:48
	v_and_b32_e32 v4, 0xffff, v4
	v_add_f32_e32 v0, v0, v42
	s_delay_alu instid0(VALU_DEP_2)
	v_lshlrev_b32_e32 v10, 3, v4
	scratch_store_b32 off, v5, off offset:348 ; 4-byte Folded Spill
	v_fmamk_f32 v4, v8, 0x3f5db3d7, v2
	v_dual_fmamk_f32 v5, v9, 0xbf5db3d7, v3 :: v_dual_fmac_f32 v2, 0xbf5db3d7, v8
	v_fmac_f32_e32 v3, 0x3f5db3d7, v9
	v_sub_f32_e32 v8, v62, v25
	v_sub_f32_e32 v9, v66, v68
	ds_store_2addr_b64 v10, v[0:1], v[4:5] offset1:3
	v_add_f32_e32 v0, v55, v63
	ds_store_b64 v10, v[2:3] offset:48
	v_mad_u16 v2, v29, 9, v31
	v_add_f32_e32 v3, v63, v26
	v_dual_add_f32 v5, v62, v25 :: v_dual_sub_f32 v4, v63, v26
	v_add_f32_e32 v1, v0, v26
	s_delay_alu instid0(VALU_DEP_3) | instskip(NEXT) | instid1(VALU_DEP_3)
	v_dual_add_f32 v0, v54, v62 :: v_dual_fmac_f32 v55, -0.5, v3
	v_fma_f32 v54, -0.5, v5, v54
	v_and_b32_e32 v2, 0xffff, v2
	s_delay_alu instid0(VALU_DEP_3) | instskip(NEXT) | instid1(VALU_DEP_4)
	v_add_f32_e32 v0, v0, v25
	v_fmamk_f32 v3, v8, 0xbf5db3d7, v55
	v_fmac_f32_e32 v55, 0x3f5db3d7, v8
	s_delay_alu instid0(VALU_DEP_4)
	v_dual_fmamk_f32 v2, v4, 0x3f5db3d7, v54 :: v_dual_lshlrev_b32 v5, 3, v2
	v_fmac_f32_e32 v54, 0xbf5db3d7, v4
	v_mad_u16 v4, v27, 9, v60
	v_sub_f32_e32 v8, v67, v69
	s_clause 0x1
	scratch_store_b32 off, v10, off offset:344
	scratch_store_b32 off, v5, off offset:340
	ds_store_2addr_b64 v5, v[0:1], v[2:3] offset1:3
	v_dual_add_f32 v0, v57, v67 :: v_dual_add_f32 v3, v67, v69
	v_add_f32_e32 v2, v66, v68
	v_and_b32_e32 v4, 0xffff, v4
	ds_store_b64 v5, v[54:55] offset:48
	v_add_f32_e32 v1, v0, v69
	v_add_f32_e32 v0, v56, v66
	v_fma_f32 v2, -0.5, v2, v56
	v_fma_f32 v3, -0.5, v3, v57
	v_dual_mov_b32 v57, v141 :: v_dual_lshlrev_b32 v10, 3, v4
	s_delay_alu instid0(VALU_DEP_4) | instskip(NEXT) | instid1(VALU_DEP_4)
	v_add_f32_e32 v0, v0, v68
	v_fmamk_f32 v4, v8, 0x3f5db3d7, v2
	s_delay_alu instid0(VALU_DEP_4)
	v_dual_fmamk_f32 v5, v9, 0xbf5db3d7, v3 :: v_dual_fmac_f32 v2, 0xbf5db3d7, v8
	v_dual_fmac_f32 v3, 0x3f5db3d7, v9 :: v_dual_sub_f32 v8, v74, v70
	scratch_store_b32 off, v10, off offset:336 ; 4-byte Folded Spill
	ds_store_2addr_b64 v10, v[0:1], v[4:5] offset1:3
	v_add_f32_e32 v0, v59, v75
	ds_store_b64 v10, v[2:3] offset:48
	v_mad_u16 v2, v43, 9, v61
	v_add_f32_e32 v3, v75, v71
	v_dual_add_f32 v5, v74, v70 :: v_dual_sub_f32 v4, v75, v71
	v_dual_add_f32 v1, v0, v71 :: v_dual_add_f32 v0, v58, v74
	s_delay_alu instid0(VALU_DEP_3) | instskip(NEXT) | instid1(VALU_DEP_3)
	v_fmac_f32_e32 v59, -0.5, v3
	v_fma_f32 v58, -0.5, v5, v58
	v_and_b32_e32 v2, 0xffff, v2
	v_mov_b32_e32 v56, v140
	v_add_f32_e32 v0, v0, v70
	v_fmamk_f32 v3, v8, 0xbf5db3d7, v59
	v_fmac_f32_e32 v59, 0x3f5db3d7, v8
	v_dual_fmamk_f32 v2, v4, 0x3f5db3d7, v58 :: v_dual_lshlrev_b32 v5, 3, v2
	v_fmac_f32_e32 v58, 0xbf5db3d7, v4
	scratch_store_b32 off, v5, off offset:312 ; 4-byte Folded Spill
	ds_store_2addr_b64 v5, v[0:1], v[2:3] offset1:3
	v_mul_f32_e32 v0, v7, v81
	v_add_f32_e32 v1, v37, v77
	ds_store_b64 v5, v[58:59] offset:48
	v_mad_u16 v3, v72, 9, v73
	v_fma_f32 v2, v6, v80, -v0
	v_mul_f32_e32 v0, v6, v81
	s_delay_alu instid0(VALU_DEP_2) | instskip(NEXT) | instid1(VALU_DEP_2)
	v_add_f32_e32 v6, v76, v2
	v_dual_fmac_f32 v0, v7, v80 :: v_dual_sub_f32 v7, v76, v2
	s_delay_alu instid0(VALU_DEP_1) | instskip(SKIP_4) | instid1(VALU_DEP_2)
	v_sub_f32_e32 v4, v77, v0
	v_add_f32_e32 v5, v77, v0
	v_add_f32_e32 v1, v1, v0
	;; [unrolled: 1-line block ×3, first 2 shown]
	v_fma_f32 v36, -0.5, v6, v36
	v_dual_fmac_f32 v37, -0.5, v5 :: v_dual_add_f32 v0, v0, v2
	v_and_b32_e32 v2, 0xffff, v3
	s_delay_alu instid0(VALU_DEP_2) | instskip(SKIP_1) | instid1(VALU_DEP_3)
	v_fmamk_f32 v3, v7, 0xbf5db3d7, v37
	v_fmac_f32_e32 v37, 0x3f5db3d7, v7
	v_dual_fmamk_f32 v2, v4, 0x3f5db3d7, v36 :: v_dual_lshlrev_b32 v5, 3, v2
	v_fmac_f32_e32 v36, 0xbf5db3d7, v4
	scratch_store_b32 off, v5, off offset:316 ; 4-byte Folded Spill
	ds_store_2addr_b64 v5, v[0:1], v[2:3] offset1:3
	v_mul_u32_u24_e32 v0, 0xe38f, v97
	ds_store_b64 v5, v[36:37] offset:48
	global_wb scope:SCOPE_SE
	s_wait_storecnt_dscnt 0x0
	s_barrier_signal -1
	s_barrier_wait -1
	v_lshrrev_b32_e32 v80, 19, v0
	v_mul_lo_u16 v0, v98, 57
	global_inv scope:SCOPE_SE
	v_lshrrev_b16 v76, 9, v0
	v_mul_lo_u16 v0, v80, 9
	s_delay_alu instid0(VALU_DEP_1) | instskip(NEXT) | instid1(VALU_DEP_3)
	v_sub_nc_u16 v81, v234, v0
	v_mul_lo_u16 v0, v76, 9
	s_delay_alu instid0(VALU_DEP_2) | instskip(NEXT) | instid1(VALU_DEP_2)
	v_lshlrev_b16 v1, 4, v81
	v_sub_nc_u16 v0, v96, v0
	s_delay_alu instid0(VALU_DEP_2) | instskip(NEXT) | instid1(VALU_DEP_2)
	v_and_b32_e32 v1, 0xffff, v1
	v_and_b32_e32 v77, 0xff, v0
	s_delay_alu instid0(VALU_DEP_2) | instskip(SKIP_2) | instid1(VALU_DEP_3)
	v_add_co_u32 v0, s12, s10, v1
	s_wait_alu 0xf1ff
	v_add_co_ci_u32_e64 v1, null, s11, 0, s12
	v_lshlrev_b32_e32 v2, 4, v77
	s_clause 0x1
	global_load_b128 v[9:12], v[0:1], off offset:48
	global_load_b128 v[16:19], v2, s[10:11] offset:48
	ds_load_2addr_b64 v[44:47], v175 offset0:6 offset1:249
	ds_load_2addr_b64 v[50:53], v235 offset0:6 offset1:249
	s_wait_loadcnt_dscnt 0x1
	v_dual_mul_f32 v7, v46, v12 :: v_dual_mul_f32 v0, v45, v19
	v_mul_f32_e32 v5, v44, v19
	s_delay_alu instid0(VALU_DEP_2) | instskip(NEXT) | instid1(VALU_DEP_3)
	v_fmac_f32_e32 v7, v47, v11
	v_fma_f32 v4, v44, v18, -v0
	s_delay_alu instid0(VALU_DEP_3) | instskip(NEXT) | instid1(VALU_DEP_1)
	v_dual_mul_f32 v0, v47, v12 :: v_dual_fmac_f32 v5, v45, v18
	v_fma_f32 v6, v46, v11, -v0
	v_mul_u32_u24_e32 v0, 0xe38f, v135
	v_mov_b32_e32 v14, v12
	v_dual_mov_b32 v13, v11 :: v_dual_mov_b32 v12, v10
	v_mov_b32_e32 v11, v9
	s_delay_alu instid0(VALU_DEP_4)
	v_lshrrev_b32_e32 v119, 19, v0
	v_mul_u32_u24_e32 v0, 0xe38f, v132
	s_wait_dscnt 0x0
	v_mul_f32_e32 v9, v51, v12
	scratch_store_b128 off, v[11:14], off offset:428 ; 16-byte Folded Spill
	v_mul_f32_e32 v10, v50, v12
	v_lshrrev_b32_e32 v82, 19, v0
	v_mul_lo_u16 v0, v119, 9
	v_fma_f32 v9, v50, v11, -v9
	s_delay_alu instid0(VALU_DEP_2) | instskip(NEXT) | instid1(VALU_DEP_4)
	v_sub_nc_u16 v8, v160, v0
	v_mul_lo_u16 v0, v82, 9
	s_delay_alu instid0(VALU_DEP_1) | instskip(NEXT) | instid1(VALU_DEP_3)
	v_sub_nc_u16 v83, v206, v0
	v_lshlrev_b16 v0, 4, v8
	s_delay_alu instid0(VALU_DEP_2) | instskip(NEXT) | instid1(VALU_DEP_2)
	v_lshlrev_b16 v1, 4, v83
	v_and_b32_e32 v0, 0xffff, v0
	s_delay_alu instid0(VALU_DEP_2) | instskip(NEXT) | instid1(VALU_DEP_2)
	v_and_b32_e32 v2, 0xffff, v1
	v_add_co_u32 v0, s12, s10, v0
	s_wait_alu 0xf1ff
	v_add_co_ci_u32_e64 v1, null, s11, 0, s12
	s_delay_alu instid0(VALU_DEP_3)
	v_add_co_u32 v2, s12, s10, v2
	s_wait_alu 0xf1ff
	v_add_co_ci_u32_e64 v3, null, s11, 0, s12
	s_clause 0x1
	global_load_b128 v[20:23], v[0:1], off offset:48
	global_load_b128 v[24:27], v[2:3], off offset:48
	ds_load_2addr_b64 v[58:61], v139 offset0:4 offset1:247
	s_wait_loadcnt 0x1
	v_mul_f32_e32 v12, v52, v21
	s_wait_loadcnt_dscnt 0x0
	v_mul_f32_e32 v15, v59, v25
	v_mul_f32_e32 v104, v58, v25
	s_clause 0x1
	scratch_store_b128 off, v[20:23], off offset:444
	scratch_store_b128 off, v[24:27], off offset:460
	v_fmac_f32_e32 v12, v53, v20
	v_fma_f32 v99, v58, v24, -v15
	v_mul_f32_e32 v0, v53, v21
	v_fmac_f32_e32 v104, v59, v24
	v_fmac_f32_e32 v10, v51, v11
	v_dual_mov_b32 v59, v155 :: v_dual_mov_b32 v58, v153
	s_delay_alu instid0(VALU_DEP_4)
	v_fma_f32 v11, v52, v20, -v0
	ds_load_2addr_b64 v[52:55], v191 offset0:12 offset1:255
	s_wait_dscnt 0x0
	v_mul_f32_e32 v0, v53, v23
	v_mul_f32_e32 v14, v52, v23
	;; [unrolled: 1-line block ×3, first 2 shown]
	s_delay_alu instid0(VALU_DEP_3) | instskip(SKIP_1) | instid1(VALU_DEP_3)
	v_fma_f32 v13, v52, v22, -v0
	v_mul_f32_e32 v0, v55, v27
	v_fmac_f32_e32 v88, v55, v26
	v_fmac_f32_e32 v14, v53, v22
	s_delay_alu instid0(VALU_DEP_3) | instskip(SKIP_1) | instid1(VALU_DEP_1)
	v_fma_f32 v86, v54, v26, -v0
	v_mul_u32_u24_e32 v0, 0xe38f, v133
	v_lshrrev_b32_e32 v84, 19, v0
	v_mul_u32_u24_e32 v0, 0xe38f, v134
	s_delay_alu instid0(VALU_DEP_1) | instskip(NEXT) | instid1(VALU_DEP_3)
	v_lshrrev_b32_e32 v85, 19, v0
	v_mul_lo_u16 v0, v84, 9
	s_delay_alu instid0(VALU_DEP_1) | instskip(NEXT) | instid1(VALU_DEP_3)
	v_sub_nc_u16 v89, v211, v0
	v_mul_lo_u16 v0, v85, 9
	s_delay_alu instid0(VALU_DEP_1) | instskip(NEXT) | instid1(VALU_DEP_3)
	v_sub_nc_u16 v87, v218, v0
	v_lshlrev_b16 v0, 4, v89
	s_delay_alu instid0(VALU_DEP_2) | instskip(NEXT) | instid1(VALU_DEP_2)
	v_lshlrev_b16 v1, 4, v87
	v_and_b32_e32 v0, 0xffff, v0
	s_delay_alu instid0(VALU_DEP_2) | instskip(NEXT) | instid1(VALU_DEP_2)
	v_and_b32_e32 v2, 0xffff, v1
	v_add_co_u32 v0, s12, s10, v0
	s_wait_alu 0xf1ff
	v_add_co_ci_u32_e64 v1, null, s11, 0, s12
	s_delay_alu instid0(VALU_DEP_3)
	v_add_co_u32 v2, s12, s10, v2
	s_wait_alu 0xf1ff
	v_add_co_ci_u32_e64 v3, null, s11, 0, s12
	s_clause 0x1
	global_load_b128 v[20:23], v[0:1], off offset:48
	global_load_b128 v[252:255], v[2:3], off offset:48
	ds_load_2addr_b64 v[66:69], v140 offset0:10 offset1:253
	s_wait_loadcnt 0x1
	v_mul_f32_e32 v101, v60, v21
	s_wait_loadcnt_dscnt 0x0
	v_mul_f32_e32 v15, v67, v253
	scratch_store_b128 off, v[20:23], off offset:684 ; 16-byte Folded Spill
	v_fmac_f32_e32 v101, v61, v20
	v_fma_f32 v112, v66, v252, -v15
	v_mul_f32_e32 v0, v61, v21
	s_delay_alu instid0(VALU_DEP_1) | instskip(SKIP_4) | instid1(VALU_DEP_2)
	v_fma_f32 v95, v60, v20, -v0
	ds_load_2addr_b64 v[60:63], v138 offset0:2 offset1:245
	s_wait_dscnt 0x0
	v_mul_f32_e32 v0, v61, v23
	v_mul_f32_e32 v105, v60, v23
	v_fma_f32 v100, v60, v22, -v0
	s_delay_alu instid0(VALU_DEP_2) | instskip(SKIP_1) | instid1(VALU_DEP_2)
	v_dual_mul_f32 v0, v63, v255 :: v_dual_fmac_f32 v105, v61, v22
	v_mov_b32_e32 v60, v175
	v_fma_f32 v92, v62, v254, -v0
	v_mul_u32_u24_e32 v0, 0xe38f, v162
	s_delay_alu instid0(VALU_DEP_1) | instskip(SKIP_1) | instid1(VALU_DEP_1)
	v_lshrrev_b32_e32 v90, 19, v0
	v_mul_u32_u24_e32 v0, 0xe38f, v161
	v_lshrrev_b32_e32 v91, 19, v0
	s_delay_alu instid0(VALU_DEP_3) | instskip(NEXT) | instid1(VALU_DEP_1)
	v_mul_lo_u16 v0, v90, 9
	v_sub_nc_u16 v102, v212, v0
	s_delay_alu instid0(VALU_DEP_3) | instskip(NEXT) | instid1(VALU_DEP_1)
	v_mul_lo_u16 v0, v91, 9
	v_sub_nc_u16 v93, v213, v0
	s_delay_alu instid0(VALU_DEP_3) | instskip(NEXT) | instid1(VALU_DEP_2)
	v_lshlrev_b16 v0, 4, v102
	v_lshlrev_b16 v1, 4, v93
	s_delay_alu instid0(VALU_DEP_2) | instskip(NEXT) | instid1(VALU_DEP_2)
	v_and_b32_e32 v0, 0xffff, v0
	v_and_b32_e32 v2, 0xffff, v1
	s_delay_alu instid0(VALU_DEP_2) | instskip(SKIP_2) | instid1(VALU_DEP_3)
	v_add_co_u32 v0, s12, s10, v0
	s_wait_alu 0xf1ff
	v_add_co_ci_u32_e64 v1, null, s11, 0, s12
	v_add_co_u32 v2, s12, s10, v2
	s_wait_alu 0xf1ff
	v_add_co_ci_u32_e64 v3, null, s11, 0, s12
	s_clause 0x1
	global_load_b128 v[244:247], v[0:1], off offset:48
	global_load_b128 v[248:251], v[2:3], off offset:48
	ds_load_2addr_b64 v[120:123], v64 offset1:243
	scratch_store_b128 off, v[16:19], off offset:476 ; 16-byte Folded Spill
	s_wait_loadcnt 0x1
	v_mul_f32_e32 v0, v69, v245
	v_mul_f32_e32 v115, v68, v245
	s_delay_alu instid0(VALU_DEP_2) | instskip(NEXT) | instid1(VALU_DEP_2)
	v_fma_f32 v111, v68, v244, -v0
	v_fmac_f32_e32 v115, v69, v244
	ds_load_2addr_b64 v[68:71], v137 offset0:8 offset1:251
	s_wait_dscnt 0x0
	v_mul_f32_e32 v0, v69, v247
	s_wait_loadcnt 0x0
	v_mul_f32_e32 v110, v70, v251
	v_mul_f32_e32 v117, v68, v247
	s_delay_alu instid0(VALU_DEP_3) | instskip(SKIP_1) | instid1(VALU_DEP_4)
	v_fma_f32 v113, v68, v246, -v0
	v_mul_f32_e32 v0, v71, v251
	v_fmac_f32_e32 v110, v71, v250
	s_delay_alu instid0(VALU_DEP_4) | instskip(SKIP_1) | instid1(VALU_DEP_4)
	v_fmac_f32_e32 v117, v69, v246
	v_mov_b32_e32 v69, v59
	v_fma_f32 v108, v70, v250, -v0
	v_mul_u32_u24_e32 v0, 0xe38f, v233
	ds_load_2addr_b64 v[70:73], v141 offset1:243
	v_lshrrev_b32_e32 v103, 19, v0
	s_delay_alu instid0(VALU_DEP_1) | instskip(NEXT) | instid1(VALU_DEP_1)
	v_mul_lo_u16 v0, v103, 9
	v_sub_nc_u16 v106, v220, v0
	s_delay_alu instid0(VALU_DEP_1) | instskip(SKIP_2) | instid1(VALU_DEP_2)
	v_lshlrev_b16 v0, 4, v106
	s_wait_dscnt 0x0
	v_mul_f32_e32 v2, v71, v249
	v_and_b32_e32 v0, 0xffff, v0
	s_delay_alu instid0(VALU_DEP_2) | instskip(NEXT) | instid1(VALU_DEP_2)
	v_fma_f32 v114, v70, v248, -v2
	v_add_co_u32 v0, s12, s10, v0
	s_wait_alu 0xf1ff
	v_add_co_ci_u32_e64 v1, null, s11, 0, s12
	global_load_b128 v[240:243], v[0:1], off offset:48
	s_wait_loadcnt 0x0
	v_mul_f32_e32 v0, v73, v241
	v_mul_f32_e32 v109, v72, v241
	s_delay_alu instid0(VALU_DEP_2) | instskip(NEXT) | instid1(VALU_DEP_2)
	v_fma_f32 v107, v72, v240, -v0
	v_fmac_f32_e32 v109, v73, v240
	ds_load_2addr_b64 v[72:75], v153 offset0:8 offset1:251
	s_wait_dscnt 0x0
	v_mul_f32_e32 v0, v75, v17
	s_delay_alu instid0(VALU_DEP_1) | instskip(SKIP_1) | instid1(VALU_DEP_1)
	v_fma_f32 v2, v74, v16, -v0
	v_mul_f32_e32 v0, v74, v17
	v_fmac_f32_e32 v0, v75, v16
	s_delay_alu instid0(VALU_DEP_3) | instskip(NEXT) | instid1(VALU_DEP_2)
	v_sub_f32_e32 v16, v2, v4
	v_add_f32_e32 v1, v121, v0
	v_add_f32_e32 v3, v0, v5
	v_sub_f32_e32 v15, v0, v5
	s_delay_alu instid0(VALU_DEP_3) | instskip(SKIP_1) | instid1(VALU_DEP_4)
	v_dual_add_f32 v0, v120, v2 :: v_dual_add_f32 v1, v1, v5
	v_add_f32_e32 v5, v2, v4
	v_fma_f32 v3, -0.5, v3, v121
	s_delay_alu instid0(VALU_DEP_3) | instskip(SKIP_1) | instid1(VALU_DEP_4)
	v_add_f32_e32 v0, v0, v4
	v_and_b32_e32 v4, 0xffff, v76
	v_fma_f32 v2, -0.5, v5, v120
	s_delay_alu instid0(VALU_DEP_4) | instskip(SKIP_1) | instid1(VALU_DEP_4)
	v_fmamk_f32 v5, v16, 0xbf5db3d7, v3
	v_fmac_f32_e32 v3, 0x3f5db3d7, v16
	v_mul_u32_u24_e32 v4, 27, v4
	s_delay_alu instid0(VALU_DEP_1)
	v_add_lshl_u32 v17, v4, v77, 3
	v_fmamk_f32 v4, v15, 0x3f5db3d7, v2
	ds_load_b64 v[78:79], v64 offset:50544
	ds_load_2addr_b64 v[124:127], v190 offset0:6 offset1:249
	ds_load_2addr_b64 v[128:131], v65 offset0:12 offset1:255
	;; [unrolled: 1-line block ×3, first 2 shown]
	global_wb scope:SCOPE_SE
	s_wait_storecnt_dscnt 0x0
	s_barrier_signal -1
	s_barrier_wait -1
	global_inv scope:SCOPE_SE
	ds_store_2addr_b64 v17, v[0:1], v[4:5] offset1:9
	v_fmac_f32_e32 v2, 0xbf5db3d7, v15
	v_add_f32_e32 v0, v123, v10
	v_dual_add_f32 v5, v9, v6 :: v_dual_sub_f32 v4, v10, v7
	ds_store_b64 v17, v[2:3] offset:144
	v_mad_u16 v2, v80, 27, v81
	v_add_f32_e32 v3, v10, v7
	v_dual_add_f32 v1, v0, v7 :: v_dual_add_f32 v0, v122, v9
	v_fma_f32 v122, -0.5, v5, v122
	s_delay_alu instid0(VALU_DEP_3) | instskip(NEXT) | instid1(VALU_DEP_3)
	v_dual_fmac_f32 v123, -0.5, v3 :: v_dual_and_b32 v2, 0xffff, v2
	v_dual_sub_f32 v7, v11, v13 :: v_dual_add_f32 v0, v0, v6
	v_sub_f32_e32 v6, v9, v6
	s_delay_alu instid0(VALU_DEP_3) | instskip(SKIP_2) | instid1(VALU_DEP_4)
	v_dual_fmamk_f32 v2, v4, 0x3f5db3d7, v122 :: v_dual_lshlrev_b32 v5, 3, v2
	v_fmac_f32_e32 v122, 0xbf5db3d7, v4
	v_mad_u16 v4, v119, 27, v8
	v_fmamk_f32 v3, v6, 0xbf5db3d7, v123
	v_fmac_f32_e32 v123, 0x3f5db3d7, v6
	v_sub_f32_e32 v6, v12, v14
	s_clause 0x1
	scratch_store_b32 off, v17, off offset:508
	scratch_store_b32 off, v5, off offset:512
	ds_store_2addr_b64 v5, v[0:1], v[2:3] offset1:9
	v_dual_add_f32 v0, v125, v12 :: v_dual_add_f32 v3, v12, v14
	v_add_f32_e32 v2, v11, v13
	v_and_b32_e32 v4, 0xffff, v4
	ds_store_b64 v5, v[122:123] offset:144
	v_add_f32_e32 v1, v0, v14
	v_add_f32_e32 v0, v124, v11
	v_fma_f32 v2, -0.5, v2, v124
	v_fma_f32 v3, -0.5, v3, v125
	v_lshlrev_b32_e32 v8, 3, v4
	s_delay_alu instid0(VALU_DEP_4) | instskip(NEXT) | instid1(VALU_DEP_4)
	v_add_f32_e32 v0, v0, v13
	v_fmamk_f32 v4, v6, 0x3f5db3d7, v2
	s_delay_alu instid0(VALU_DEP_4)
	v_dual_fmamk_f32 v5, v7, 0xbf5db3d7, v3 :: v_dual_fmac_f32 v2, 0xbf5db3d7, v6
	v_dual_fmac_f32 v3, 0x3f5db3d7, v7 :: v_dual_sub_f32 v6, v99, v86
	v_sub_f32_e32 v7, v95, v100
	ds_store_2addr_b64 v8, v[0:1], v[4:5] offset1:9
	v_add_f32_e32 v0, v127, v104
	ds_store_b64 v8, v[2:3] offset:144
	v_mad_u16 v2, v82, 27, v83
	v_add_f32_e32 v3, v104, v88
	v_dual_add_f32 v5, v99, v86 :: v_dual_sub_f32 v4, v104, v88
	v_dual_add_f32 v1, v0, v88 :: v_dual_add_f32 v0, v126, v99
	s_delay_alu instid0(VALU_DEP_3) | instskip(NEXT) | instid1(VALU_DEP_3)
	v_fmac_f32_e32 v127, -0.5, v3
	v_fma_f32 v126, -0.5, v5, v126
	v_and_b32_e32 v2, 0xffff, v2
	s_delay_alu instid0(VALU_DEP_3) | instskip(SKIP_1) | instid1(VALU_DEP_3)
	v_dual_add_f32 v0, v0, v86 :: v_dual_fmamk_f32 v3, v6, 0xbf5db3d7, v127
	v_fmac_f32_e32 v127, 0x3f5db3d7, v6
	v_dual_fmamk_f32 v2, v4, 0x3f5db3d7, v126 :: v_dual_lshlrev_b32 v5, 3, v2
	v_fmac_f32_e32 v126, 0xbf5db3d7, v4
	v_mad_u16 v4, v84, 27, v89
	v_sub_f32_e32 v6, v101, v105
	scratch_store_b32 off, v8, off offset:540 ; 4-byte Folded Spill
	ds_store_2addr_b64 v5, v[0:1], v[2:3] offset1:9
	v_dual_add_f32 v3, v101, v105 :: v_dual_add_f32 v2, v95, v100
	v_add_f32_e32 v0, v129, v101
	v_and_b32_e32 v4, 0xffff, v4
	ds_store_b64 v5, v[126:127] offset:144
	v_fma_f32 v3, -0.5, v3, v129
	v_fma_f32 v2, -0.5, v2, v128
	v_add_f32_e32 v1, v0, v105
	v_add_f32_e32 v0, v128, v95
	v_lshlrev_b32_e32 v8, 3, v4
	scratch_store_b32 off, v5, off offset:536 ; 4-byte Folded Spill
	v_fmamk_f32 v4, v6, 0x3f5db3d7, v2
	v_dual_fmamk_f32 v5, v7, 0xbf5db3d7, v3 :: v_dual_fmac_f32 v2, 0xbf5db3d7, v6
	v_dual_fmac_f32 v3, 0x3f5db3d7, v7 :: v_dual_sub_f32 v6, v112, v92
	v_dual_mul_f32 v94, v62, v255 :: v_dual_sub_f32 v7, v111, v113
	v_mul_f32_e32 v116, v66, v253
	v_add_f32_e32 v0, v0, v100
	ds_store_b64 v8, v[2:3] offset:144
	v_fmac_f32_e32 v94, v63, v254
	v_mad_u16 v2, v85, 27, v87
	v_fmac_f32_e32 v116, v67, v252
	ds_store_2addr_b64 v8, v[0:1], v[4:5] offset1:9
	v_add_f32_e32 v5, v112, v92
	v_dual_mov_b32 v63, v191 :: v_dual_and_b32 v2, 0xffff, v2
	v_dual_add_f32 v0, v131, v116 :: v_dual_add_f32 v3, v116, v94
	s_delay_alu instid0(VALU_DEP_1) | instskip(SKIP_1) | instid1(VALU_DEP_3)
	v_dual_fmac_f32 v131, -0.5, v3 :: v_dual_lshlrev_b32 v66, 4, v234
	v_sub_f32_e32 v4, v116, v94
	v_dual_add_f32 v1, v0, v94 :: v_dual_add_f32 v0, v130, v112
	v_fma_f32 v130, -0.5, v5, v130
	v_lshlrev_b32_e32 v5, 3, v2
	v_fmamk_f32 v3, v6, 0xbf5db3d7, v131
	s_delay_alu instid0(VALU_DEP_4) | instskip(NEXT) | instid1(VALU_DEP_4)
	v_dual_fmac_f32 v131, 0x3f5db3d7, v6 :: v_dual_add_f32 v0, v0, v92
	v_fmamk_f32 v2, v4, 0x3f5db3d7, v130
	v_fmac_f32_e32 v130, 0xbf5db3d7, v4
	v_mad_u16 v4, v90, 27, v102
	v_sub_f32_e32 v6, v115, v117
	scratch_store_b32 off, v8, off offset:532 ; 4-byte Folded Spill
	ds_store_2addr_b64 v5, v[0:1], v[2:3] offset1:9
	v_add_f32_e32 v2, v111, v113
	v_dual_add_f32 v3, v115, v117 :: v_dual_and_b32 v4, 0xffff, v4
	v_add_f32_e32 v0, v75, v115
	ds_store_b64 v5, v[130:131] offset:144
	v_fma_f32 v2, -0.5, v2, v74
	v_fma_f32 v3, -0.5, v3, v75
	v_lshlrev_b32_e32 v8, 3, v4
	scratch_store_b32 off, v5, off offset:528 ; 4-byte Folded Spill
	v_dual_add_f32 v1, v0, v117 :: v_dual_fmamk_f32 v4, v6, 0x3f5db3d7, v2
	v_fmac_f32_e32 v2, 0xbf5db3d7, v6
	v_sub_f32_e32 v6, v114, v108
	v_mul_f32_e32 v118, v70, v249
	v_dual_add_f32 v0, v74, v111 :: v_dual_fmamk_f32 v5, v7, 0xbf5db3d7, v3
	v_dual_fmac_f32 v3, 0x3f5db3d7, v7 :: v_dual_mov_b32 v70, v65
	s_delay_alu instid0(VALU_DEP_3) | instskip(NEXT) | instid1(VALU_DEP_3)
	v_fmac_f32_e32 v118, v71, v248
	v_dual_add_f32 v0, v0, v113 :: v_dual_mov_b32 v71, v137
	ds_store_b64 v8, v[2:3] offset:144
	v_mad_u16 v2, v91, 27, v93
	v_add_f32_e32 v3, v118, v110
	ds_store_2addr_b64 v8, v[0:1], v[4:5] offset1:9
	v_dual_add_f32 v0, v77, v118 :: v_dual_add_f32 v5, v114, v108
	v_dual_fmac_f32 v77, -0.5, v3 :: v_dual_and_b32 v2, 0xffff, v2
	s_delay_alu instid0(VALU_DEP_2) | instskip(SKIP_1) | instid1(VALU_DEP_4)
	v_add_f32_e32 v1, v0, v110
	v_add_f32_e32 v0, v76, v114
	v_fma_f32 v76, -0.5, v5, v76
	s_delay_alu instid0(VALU_DEP_4) | instskip(SKIP_1) | instid1(VALU_DEP_4)
	v_fmamk_f32 v3, v6, 0xbf5db3d7, v77
	v_sub_f32_e32 v4, v118, v110
	v_dual_add_f32 v0, v0, v108 :: v_dual_lshlrev_b32 v5, 3, v2
	s_delay_alu instid0(VALU_DEP_2)
	v_dual_fmac_f32 v77, 0x3f5db3d7, v6 :: v_dual_fmamk_f32 v2, v4, 0x3f5db3d7, v76
	v_fmac_f32_e32 v76, 0xbf5db3d7, v4
	scratch_store_b32 off, v5, off offset:516 ; 4-byte Folded Spill
	ds_store_2addr_b64 v5, v[0:1], v[2:3] offset1:9
	v_dual_mul_f32 v0, v79, v243 :: v_dual_add_f32 v1, v73, v109
	ds_store_b64 v5, v[76:77] offset:144
	v_mad_u16 v3, v103, 27, v106
	v_fma_f32 v2, v78, v242, -v0
	v_mul_f32_e32 v0, v78, v243
	s_delay_alu instid0(VALU_DEP_2) | instskip(NEXT) | instid1(VALU_DEP_2)
	v_add_f32_e32 v6, v107, v2
	v_fmac_f32_e32 v0, v79, v242
	s_delay_alu instid0(VALU_DEP_1) | instskip(SKIP_3) | instid1(VALU_DEP_2)
	v_dual_sub_f32 v7, v107, v2 :: v_dual_add_f32 v4, v109, v0
	v_sub_f32_e32 v5, v109, v0
	v_dual_add_f32 v1, v1, v0 :: v_dual_add_f32 v0, v72, v107
	v_fma_f32 v72, -0.5, v6, v72
	v_dual_fmac_f32 v73, -0.5, v4 :: v_dual_add_f32 v0, v0, v2
	v_and_b32_e32 v2, 0xffff, v3
	s_delay_alu instid0(VALU_DEP_2) | instskip(NEXT) | instid1(VALU_DEP_2)
	v_fmamk_f32 v3, v7, 0xbf5db3d7, v73
	v_dual_fmac_f32 v73, 0x3f5db3d7, v7 :: v_dual_lshlrev_b32 v4, 3, v2
	v_fmamk_f32 v2, v5, 0x3f5db3d7, v72
	v_fmac_f32_e32 v72, 0xbf5db3d7, v5
	s_clause 0x1
	scratch_store_b32 off, v8, off offset:524
	scratch_store_b32 off, v4, off offset:520
	ds_store_2addr_b64 v4, v[0:1], v[2:3] offset1:9
	v_mul_u32_u24_e32 v0, 0x2f69, v97
	ds_store_b64 v4, v[72:73] offset:144
	global_wb scope:SCOPE_SE
	s_wait_storecnt_dscnt 0x0
	s_barrier_signal -1
	s_barrier_wait -1
	v_lshrrev_b32_e32 v0, 16, v0
	global_inv scope:SCOPE_SE
	v_dual_mov_b32 v73, v70 :: v_dual_add_nc_u32 v72, 0x9f40, v64
	v_sub_nc_u16 v1, v234, v0
	s_delay_alu instid0(VALU_DEP_1) | instskip(NEXT) | instid1(VALU_DEP_1)
	v_lshrrev_b16 v1, 1, v1
	v_add_nc_u16 v0, v1, v0
	s_delay_alu instid0(VALU_DEP_1) | instskip(SKIP_1) | instid1(VALU_DEP_1)
	v_lshrrev_b16 v99, 4, v0
	v_mul_lo_u16 v0, v98, 19
	v_lshrrev_b16 v101, 9, v0
	s_delay_alu instid0(VALU_DEP_3) | instskip(NEXT) | instid1(VALU_DEP_1)
	v_mul_lo_u16 v0, v99, 27
	v_sub_nc_u16 v100, v234, v0
	s_delay_alu instid0(VALU_DEP_3) | instskip(NEXT) | instid1(VALU_DEP_2)
	v_mul_lo_u16 v0, v101, 27
	v_lshlrev_b16 v1, 4, v100
	s_delay_alu instid0(VALU_DEP_2) | instskip(NEXT) | instid1(VALU_DEP_2)
	v_sub_nc_u16 v0, v96, v0
	v_and_b32_e32 v1, 0xffff, v1
	s_delay_alu instid0(VALU_DEP_2) | instskip(NEXT) | instid1(VALU_DEP_2)
	v_and_b32_e32 v102, 0xff, v0
	v_add_co_u32 v0, s12, s10, v1
	s_wait_alu 0xf1ff
	v_add_co_ci_u32_e64 v1, null, s11, 0, s12
	s_delay_alu instid0(VALU_DEP_3)
	v_lshlrev_b32_e32 v2, 4, v102
	s_clause 0x1
	global_load_b128 v[76:79], v[0:1], off offset:192
	global_load_b128 v[236:239], v2, s[10:11] offset:192
	ds_load_2addr_b64 v[80:83], v175 offset0:6 offset1:249
	ds_load_2addr_b64 v[86:89], v235 offset0:6 offset1:249
	s_wait_loadcnt_dscnt 0x101
	v_mul_f32_e32 v9, v82, v79
	s_wait_loadcnt 0x0
	v_mul_f32_e32 v0, v81, v239
	s_wait_dscnt 0x0
	v_dual_mul_f32 v5, v80, v239 :: v_dual_mul_f32 v6, v87, v77
	v_mul_f32_e32 v15, v86, v77
	v_fmac_f32_e32 v9, v83, v78
	v_fma_f32 v4, v80, v238, -v0
	s_delay_alu instid0(VALU_DEP_4) | instskip(SKIP_2) | instid1(VALU_DEP_3)
	v_dual_mul_f32 v0, v83, v79 :: v_dual_fmac_f32 v5, v81, v238
	v_fma_f32 v14, v86, v76, -v6
	v_fmac_f32_e32 v15, v87, v76
	v_fma_f32 v8, v82, v78, -v0
	v_mul_u32_u24_e32 v0, 0x2f69, v135
	s_delay_alu instid0(VALU_DEP_1) | instskip(NEXT) | instid1(VALU_DEP_1)
	v_lshrrev_b32_e32 v0, 16, v0
	v_sub_nc_u16 v1, v160, v0
	s_delay_alu instid0(VALU_DEP_1) | instskip(NEXT) | instid1(VALU_DEP_1)
	v_lshrrev_b16 v1, 1, v1
	v_add_nc_u16 v0, v1, v0
	v_mul_u32_u24_e32 v1, 0x2f69, v132
	s_delay_alu instid0(VALU_DEP_2) | instskip(NEXT) | instid1(VALU_DEP_2)
	v_lshrrev_b16 v10, 4, v0
	v_lshrrev_b32_e32 v1, 16, v1
	s_delay_alu instid0(VALU_DEP_2) | instskip(NEXT) | instid1(VALU_DEP_2)
	v_mul_lo_u16 v0, v10, 27
	v_sub_nc_u16 v2, v206, v1
	s_delay_alu instid0(VALU_DEP_2) | instskip(NEXT) | instid1(VALU_DEP_2)
	v_sub_nc_u16 v12, v160, v0
	v_lshrrev_b16 v2, 1, v2
	s_delay_alu instid0(VALU_DEP_1) | instskip(NEXT) | instid1(VALU_DEP_1)
	v_add_nc_u16 v1, v2, v1
	v_lshrrev_b16 v11, 4, v1
	s_delay_alu instid0(VALU_DEP_1) | instskip(NEXT) | instid1(VALU_DEP_1)
	v_mul_lo_u16 v0, v11, 27
	v_sub_nc_u16 v13, v206, v0
	v_lshlrev_b16 v0, 4, v12
	s_delay_alu instid0(VALU_DEP_2) | instskip(NEXT) | instid1(VALU_DEP_2)
	v_lshlrev_b16 v1, 4, v13
	v_and_b32_e32 v0, 0xffff, v0
	s_delay_alu instid0(VALU_DEP_2) | instskip(NEXT) | instid1(VALU_DEP_2)
	v_and_b32_e32 v2, 0xffff, v1
	v_add_co_u32 v0, s12, s10, v0
	s_wait_alu 0xf1ff
	v_add_co_ci_u32_e64 v1, null, s11, 0, s12
	s_delay_alu instid0(VALU_DEP_3)
	v_add_co_u32 v2, s12, s10, v2
	s_wait_alu 0xf1ff
	v_add_co_ci_u32_e64 v3, null, s11, 0, s12
	s_clause 0x1
	global_load_b128 v[80:83], v[0:1], off offset:192
	global_load_b128 v[84:87], v[2:3], off offset:192
	ds_load_2addr_b64 v[103:106], v139 offset0:4 offset1:247
	s_wait_loadcnt 0x1
	v_mul_f32_e32 v0, v89, v81
	v_mul_f32_e32 v17, v88, v81
	s_wait_loadcnt_dscnt 0x0
	v_mul_f32_e32 v6, v104, v85
	v_mul_f32_e32 v27, v103, v85
	v_fma_f32 v16, v88, v80, -v0
	v_fmac_f32_e32 v17, v89, v80
	ds_load_2addr_b64 v[88:91], v191 offset0:12 offset1:255
	v_fma_f32 v26, v103, v84, -v6
	s_wait_dscnt 0x0
	v_dual_fmac_f32 v27, v104, v84 :: v_dual_mul_f32 v0, v89, v83
	v_mul_f32_e32 v19, v88, v83
	v_mul_f32_e32 v21, v90, v87
	s_delay_alu instid0(VALU_DEP_3) | instskip(NEXT) | instid1(VALU_DEP_3)
	v_fma_f32 v18, v88, v82, -v0
	v_dual_mul_f32 v0, v91, v87 :: v_dual_fmac_f32 v19, v89, v82
	s_delay_alu instid0(VALU_DEP_3) | instskip(NEXT) | instid1(VALU_DEP_2)
	v_fmac_f32_e32 v21, v91, v86
	v_fma_f32 v20, v90, v86, -v0
	v_mul_u32_u24_e32 v0, 0x2f69, v133
	s_delay_alu instid0(VALU_DEP_1) | instskip(NEXT) | instid1(VALU_DEP_1)
	v_lshrrev_b32_e32 v0, 16, v0
	v_sub_nc_u16 v1, v211, v0
	s_delay_alu instid0(VALU_DEP_1) | instskip(NEXT) | instid1(VALU_DEP_1)
	v_lshrrev_b16 v1, 1, v1
	v_add_nc_u16 v0, v1, v0
	v_mul_u32_u24_e32 v1, 0x2f69, v134
	s_delay_alu instid0(VALU_DEP_2) | instskip(NEXT) | instid1(VALU_DEP_2)
	v_lshrrev_b16 v22, 4, v0
	v_lshrrev_b32_e32 v1, 16, v1
	s_delay_alu instid0(VALU_DEP_2) | instskip(NEXT) | instid1(VALU_DEP_2)
	v_mul_lo_u16 v0, v22, 27
	v_sub_nc_u16 v2, v218, v1
	s_delay_alu instid0(VALU_DEP_2) | instskip(NEXT) | instid1(VALU_DEP_2)
	v_sub_nc_u16 v24, v211, v0
	v_lshrrev_b16 v2, 1, v2
	s_delay_alu instid0(VALU_DEP_1) | instskip(NEXT) | instid1(VALU_DEP_1)
	v_add_nc_u16 v1, v2, v1
	v_lshrrev_b16 v23, 4, v1
	s_delay_alu instid0(VALU_DEP_1) | instskip(NEXT) | instid1(VALU_DEP_1)
	v_mul_lo_u16 v0, v23, 27
	v_sub_nc_u16 v25, v218, v0
	v_lshlrev_b16 v0, 4, v24
	s_delay_alu instid0(VALU_DEP_2) | instskip(NEXT) | instid1(VALU_DEP_2)
	v_lshlrev_b16 v1, 4, v25
	v_and_b32_e32 v0, 0xffff, v0
	s_delay_alu instid0(VALU_DEP_2) | instskip(NEXT) | instid1(VALU_DEP_2)
	v_and_b32_e32 v2, 0xffff, v1
	v_add_co_u32 v0, s12, s10, v0
	s_wait_alu 0xf1ff
	v_add_co_ci_u32_e64 v1, null, s11, 0, s12
	s_delay_alu instid0(VALU_DEP_3)
	v_add_co_u32 v2, s12, s10, v2
	s_wait_alu 0xf1ff
	v_add_co_ci_u32_e64 v3, null, s11, 0, s12
	s_clause 0x1
	global_load_b128 v[88:91], v[0:1], off offset:192
	global_load_b128 v[92:95], v[2:3], off offset:192
	s_wait_loadcnt 0x1
	v_mul_f32_e32 v0, v106, v89
	v_mul_f32_e32 v29, v105, v89
	s_delay_alu instid0(VALU_DEP_2) | instskip(NEXT) | instid1(VALU_DEP_2)
	v_fma_f32 v28, v105, v88, -v0
	v_fmac_f32_e32 v29, v106, v88
	ds_load_2addr_b64 v[103:106], v138 offset0:2 offset1:245
	s_wait_dscnt 0x0
	v_mul_f32_e32 v0, v104, v91
	v_mul_f32_e32 v31, v103, v91
	s_wait_loadcnt 0x0
	v_mul_f32_e32 v33, v105, v95
	s_delay_alu instid0(VALU_DEP_3) | instskip(NEXT) | instid1(VALU_DEP_3)
	v_fma_f32 v30, v103, v90, -v0
	v_dual_mul_f32 v0, v106, v95 :: v_dual_fmac_f32 v31, v104, v90
	s_delay_alu instid0(VALU_DEP_3) | instskip(NEXT) | instid1(VALU_DEP_2)
	v_fmac_f32_e32 v33, v106, v94
	v_fma_f32 v32, v105, v94, -v0
	v_mul_u32_u24_e32 v0, 0x2f69, v162
	ds_load_2addr_b64 v[103:106], v140 offset0:10 offset1:253
	v_lshrrev_b32_e32 v0, 16, v0
	s_delay_alu instid0(VALU_DEP_1) | instskip(NEXT) | instid1(VALU_DEP_1)
	v_sub_nc_u16 v1, v212, v0
	v_lshrrev_b16 v1, 1, v1
	s_delay_alu instid0(VALU_DEP_1)
	v_add_nc_u16 v0, v1, v0
	v_mul_u32_u24_e32 v1, 0x2f69, v161
	s_wait_dscnt 0x0
	v_mul_f32_e32 v6, v104, v93
	v_mul_f32_e32 v39, v103, v93
	v_lshrrev_b16 v34, 4, v0
	v_lshrrev_b32_e32 v1, 16, v1
	s_delay_alu instid0(VALU_DEP_4) | instskip(NEXT) | instid1(VALU_DEP_4)
	v_fma_f32 v38, v103, v92, -v6
	v_fmac_f32_e32 v39, v104, v92
	s_delay_alu instid0(VALU_DEP_4) | instskip(NEXT) | instid1(VALU_DEP_4)
	v_mul_lo_u16 v0, v34, 27
	v_sub_nc_u16 v2, v213, v1
	s_delay_alu instid0(VALU_DEP_2) | instskip(NEXT) | instid1(VALU_DEP_2)
	v_sub_nc_u16 v36, v212, v0
	v_lshrrev_b16 v2, 1, v2
	s_delay_alu instid0(VALU_DEP_1) | instskip(NEXT) | instid1(VALU_DEP_1)
	v_add_nc_u16 v1, v2, v1
	v_lshrrev_b16 v35, 4, v1
	s_delay_alu instid0(VALU_DEP_1) | instskip(NEXT) | instid1(VALU_DEP_1)
	v_mul_lo_u16 v0, v35, 27
	v_sub_nc_u16 v37, v213, v0
	v_lshlrev_b16 v0, 4, v36
	s_delay_alu instid0(VALU_DEP_2) | instskip(NEXT) | instid1(VALU_DEP_2)
	v_lshlrev_b16 v1, 4, v37
	v_and_b32_e32 v0, 0xffff, v0
	s_delay_alu instid0(VALU_DEP_2) | instskip(NEXT) | instid1(VALU_DEP_2)
	v_and_b32_e32 v2, 0xffff, v1
	v_add_co_u32 v0, s12, s10, v0
	s_wait_alu 0xf1ff
	v_add_co_ci_u32_e64 v1, null, s11, 0, s12
	s_delay_alu instid0(VALU_DEP_3)
	v_add_co_u32 v2, s12, s10, v2
	s_wait_alu 0xf1ff
	v_add_co_ci_u32_e64 v3, null, s11, 0, s12
	s_clause 0x1
	global_load_b128 v[108:111], v[0:1], off offset:192
	global_load_b128 v[116:119], v[2:3], off offset:192
	ds_load_2addr_b64 v[112:115], v64 offset1:243
	s_wait_loadcnt 0x1
	v_mul_f32_e32 v0, v106, v109
	v_mul_f32_e32 v41, v105, v109
	s_delay_alu instid0(VALU_DEP_2) | instskip(NEXT) | instid1(VALU_DEP_2)
	v_fma_f32 v40, v105, v108, -v0
	v_fmac_f32_e32 v41, v106, v108
	ds_load_2addr_b64 v[103:106], v137 offset0:8 offset1:251
	s_wait_dscnt 0x0
	v_mul_f32_e32 v0, v104, v111
	v_mul_f32_e32 v43, v103, v111
	s_wait_loadcnt 0x0
	v_mul_f32_e32 v45, v105, v119
	s_delay_alu instid0(VALU_DEP_3) | instskip(NEXT) | instid1(VALU_DEP_3)
	v_fma_f32 v42, v103, v110, -v0
	v_dual_mul_f32 v0, v106, v119 :: v_dual_fmac_f32 v43, v104, v110
	s_delay_alu instid0(VALU_DEP_3) | instskip(NEXT) | instid1(VALU_DEP_2)
	v_dual_fmac_f32 v45, v106, v118 :: v_dual_mov_b32 v68, v139
	v_fma_f32 v44, v105, v118, -v0
	v_mul_u32_u24_e32 v0, 0x2f69, v233
	ds_load_2addr_b64 v[103:106], v141 offset1:243
	v_lshrrev_b32_e32 v0, 16, v0
	s_delay_alu instid0(VALU_DEP_1) | instskip(NEXT) | instid1(VALU_DEP_1)
	v_sub_nc_u16 v1, v220, v0
	v_lshrrev_b16 v1, 1, v1
	s_delay_alu instid0(VALU_DEP_1) | instskip(SKIP_3) | instid1(VALU_DEP_3)
	v_add_nc_u16 v0, v1, v0
	s_wait_dscnt 0x0
	v_mul_f32_e32 v2, v104, v117
	v_mul_f32_e32 v49, v103, v117
	v_lshrrev_b16 v46, 4, v0
	s_delay_alu instid0(VALU_DEP_3) | instskip(NEXT) | instid1(VALU_DEP_3)
	v_fma_f32 v48, v103, v116, -v2
	v_fmac_f32_e32 v49, v104, v116
	s_delay_alu instid0(VALU_DEP_3) | instskip(NEXT) | instid1(VALU_DEP_1)
	v_mul_lo_u16 v0, v46, 27
	v_sub_nc_u16 v47, v220, v0
	s_delay_alu instid0(VALU_DEP_1) | instskip(NEXT) | instid1(VALU_DEP_1)
	v_lshlrev_b16 v0, 4, v47
	v_and_b32_e32 v0, 0xffff, v0
	s_delay_alu instid0(VALU_DEP_1)
	v_add_co_u32 v0, s12, s10, v0
	s_wait_alu 0xf1ff
	v_add_co_ci_u32_e64 v1, null, s11, 0, s12
	global_load_b128 v[120:123], v[0:1], off offset:192
	s_wait_loadcnt 0x0
	v_mul_f32_e32 v0, v106, v121
	v_mul_f32_e32 v51, v105, v121
	s_delay_alu instid0(VALU_DEP_2) | instskip(NEXT) | instid1(VALU_DEP_2)
	v_fma_f32 v50, v105, v120, -v0
	v_fmac_f32_e32 v51, v106, v120
	ds_load_2addr_b64 v[103:106], v153 offset0:8 offset1:251
	v_mov_b32_e32 v62, v138
	s_wait_dscnt 0x0
	v_mul_f32_e32 v0, v106, v237
	s_delay_alu instid0(VALU_DEP_1) | instskip(NEXT) | instid1(VALU_DEP_1)
	v_fma_f32 v2, v105, v236, -v0
	v_dual_mul_f32 v0, v105, v237 :: v_dual_sub_f32 v53, v2, v4
	s_delay_alu instid0(VALU_DEP_1) | instskip(NEXT) | instid1(VALU_DEP_1)
	v_fmac_f32_e32 v0, v106, v236
	v_dual_add_f32 v1, v113, v0 :: v_dual_sub_f32 v52, v0, v5
	v_add_f32_e32 v3, v0, v5
	s_delay_alu instid0(VALU_DEP_2) | instskip(SKIP_1) | instid1(VALU_DEP_3)
	v_dual_add_f32 v0, v112, v2 :: v_dual_add_f32 v1, v1, v5
	v_add_f32_e32 v5, v2, v4
	v_fma_f32 v3, -0.5, v3, v113
	s_delay_alu instid0(VALU_DEP_3) | instskip(SKIP_1) | instid1(VALU_DEP_4)
	v_add_f32_e32 v0, v0, v4
	v_and_b32_e32 v4, 0xffff, v101
	v_fma_f32 v2, -0.5, v5, v112
	s_delay_alu instid0(VALU_DEP_4) | instskip(SKIP_1) | instid1(VALU_DEP_4)
	v_fmamk_f32 v5, v53, 0xbf5db3d7, v3
	v_fmac_f32_e32 v3, 0x3f5db3d7, v53
	v_mul_u32_u24_e32 v4, 0x51, v4
	s_delay_alu instid0(VALU_DEP_1)
	v_add_lshl_u32 v54, v4, v102, 3
	v_fmamk_f32 v4, v52, 0x3f5db3d7, v2
	v_fmac_f32_e32 v2, 0xbf5db3d7, v52
	scratch_store_b32 off, v54, off offset:544 ; 4-byte Folded Spill
	ds_load_b64 v[6:7], v64 offset:50544
	ds_load_2addr_b64 v[124:127], v190 offset0:6 offset1:249
	ds_load_2addr_b64 v[128:131], v65 offset0:12 offset1:255
	;; [unrolled: 1-line block ×3, first 2 shown]
	global_wb scope:SCOPE_SE
	s_wait_storecnt_dscnt 0x0
	s_barrier_signal -1
	s_barrier_wait -1
	global_inv scope:SCOPE_SE
	ds_store_2addr_b64 v54, v[0:1], v[4:5] offset1:27
	v_add_f32_e32 v0, v115, v15
	ds_store_b64 v54, v[2:3] offset:432
	v_mad_u16 v2, 0x51, v99, v100
	v_add_f32_e32 v3, v15, v9
	v_add_f32_e32 v5, v14, v8
	v_dual_add_f32 v1, v0, v9 :: v_dual_add_f32 v0, v114, v14
	s_delay_alu instid0(VALU_DEP_3) | instskip(NEXT) | instid1(VALU_DEP_3)
	v_dual_sub_f32 v4, v15, v9 :: v_dual_fmac_f32 v115, -0.5, v3
	v_fma_f32 v114, -0.5, v5, v114
	v_and_b32_e32 v2, 0xffff, v2
	s_delay_alu instid0(VALU_DEP_4) | instskip(SKIP_1) | instid1(VALU_DEP_3)
	v_add_f32_e32 v0, v0, v8
	v_dual_sub_f32 v8, v14, v8 :: v_dual_sub_f32 v9, v16, v18
	v_dual_fmamk_f32 v2, v4, 0x3f5db3d7, v114 :: v_dual_lshlrev_b32 v5, 3, v2
	s_delay_alu instid0(VALU_DEP_2)
	v_dual_fmamk_f32 v3, v8, 0xbf5db3d7, v115 :: v_dual_fmac_f32 v114, 0xbf5db3d7, v4
	v_mad_u16 v4, 0x51, v10, v12
	v_dual_fmac_f32 v115, 0x3f5db3d7, v8 :: v_dual_sub_f32 v8, v17, v19
	ds_store_2addr_b64 v5, v[0:1], v[2:3] offset1:27
	v_add_f32_e32 v0, v125, v17
	v_dual_add_f32 v3, v17, v19 :: v_dual_add_f32 v2, v16, v18
	v_and_b32_e32 v4, 0xffff, v4
	scratch_store_b32 off, v5, off offset:548 ; 4-byte Folded Spill
	v_add_f32_e32 v1, v0, v19
	v_add_f32_e32 v0, v124, v16
	v_fma_f32 v2, -0.5, v2, v124
	v_fma_f32 v3, -0.5, v3, v125
	ds_store_b64 v5, v[114:115] offset:432
	v_lshlrev_b32_e32 v10, 3, v4
	v_add_f32_e32 v0, v0, v18
	v_fmamk_f32 v4, v8, 0x3f5db3d7, v2
	v_dual_fmamk_f32 v5, v9, 0xbf5db3d7, v3 :: v_dual_fmac_f32 v2, 0xbf5db3d7, v8
	v_dual_fmac_f32 v3, 0x3f5db3d7, v9 :: v_dual_sub_f32 v8, v26, v20
	v_sub_f32_e32 v9, v28, v30
	ds_store_2addr_b64 v10, v[0:1], v[4:5] offset1:27
	v_add_f32_e32 v0, v127, v27
	ds_store_b64 v10, v[2:3] offset:432
	v_mad_u16 v2, 0x51, v11, v13
	v_add_f32_e32 v3, v27, v21
	v_dual_add_f32 v5, v26, v20 :: v_dual_sub_f32 v4, v27, v21
	v_dual_add_f32 v1, v0, v21 :: v_dual_add_f32 v0, v126, v26
	s_delay_alu instid0(VALU_DEP_3) | instskip(NEXT) | instid1(VALU_DEP_3)
	v_fmac_f32_e32 v127, -0.5, v3
	v_fma_f32 v126, -0.5, v5, v126
	v_and_b32_e32 v2, 0xffff, v2
	s_delay_alu instid0(VALU_DEP_4) | instskip(NEXT) | instid1(VALU_DEP_4)
	v_add_f32_e32 v0, v0, v20
	v_fmamk_f32 v3, v8, 0xbf5db3d7, v127
	v_fmac_f32_e32 v127, 0x3f5db3d7, v8
	s_delay_alu instid0(VALU_DEP_4)
	v_dual_fmamk_f32 v2, v4, 0x3f5db3d7, v126 :: v_dual_lshlrev_b32 v5, 3, v2
	v_fmac_f32_e32 v126, 0xbf5db3d7, v4
	v_mad_u16 v4, 0x51, v22, v24
	v_sub_f32_e32 v8, v29, v31
	scratch_store_b32 off, v10, off offset:552 ; 4-byte Folded Spill
	ds_store_2addr_b64 v5, v[0:1], v[2:3] offset1:27
	v_add_f32_e32 v0, v129, v29
	v_dual_add_f32 v3, v29, v31 :: v_dual_add_f32 v2, v28, v30
	v_and_b32_e32 v4, 0xffff, v4
	ds_store_b64 v5, v[126:127] offset:432
	v_add_f32_e32 v1, v0, v31
	v_add_f32_e32 v0, v128, v28
	v_fma_f32 v2, -0.5, v2, v128
	v_fma_f32 v3, -0.5, v3, v129
	v_lshlrev_b32_e32 v10, 3, v4
	scratch_store_b32 off, v5, off offset:556 ; 4-byte Folded Spill
	v_add_f32_e32 v0, v0, v30
	v_fmamk_f32 v4, v8, 0x3f5db3d7, v2
	v_dual_fmamk_f32 v5, v9, 0xbf5db3d7, v3 :: v_dual_fmac_f32 v2, 0xbf5db3d7, v8
	v_dual_fmac_f32 v3, 0x3f5db3d7, v9 :: v_dual_sub_f32 v8, v38, v32
	v_sub_f32_e32 v9, v40, v42
	ds_store_2addr_b64 v10, v[0:1], v[4:5] offset1:27
	v_add_f32_e32 v0, v131, v39
	ds_store_b64 v10, v[2:3] offset:432
	v_mad_u16 v2, 0x51, v23, v25
	v_add_f32_e32 v3, v39, v33
	v_dual_add_f32 v5, v38, v32 :: v_dual_sub_f32 v4, v39, v33
	v_dual_add_f32 v1, v0, v33 :: v_dual_add_f32 v0, v130, v38
	s_delay_alu instid0(VALU_DEP_3) | instskip(NEXT) | instid1(VALU_DEP_3)
	v_fmac_f32_e32 v131, -0.5, v3
	v_fma_f32 v130, -0.5, v5, v130
	v_and_b32_e32 v2, 0xffff, v2
	s_delay_alu instid0(VALU_DEP_4) | instskip(NEXT) | instid1(VALU_DEP_4)
	v_add_f32_e32 v0, v0, v32
	v_fmamk_f32 v3, v8, 0xbf5db3d7, v131
	v_fmac_f32_e32 v131, 0x3f5db3d7, v8
	s_delay_alu instid0(VALU_DEP_4)
	v_dual_fmamk_f32 v2, v4, 0x3f5db3d7, v130 :: v_dual_lshlrev_b32 v5, 3, v2
	v_fmac_f32_e32 v130, 0xbf5db3d7, v4
	v_mad_u16 v4, 0x51, v34, v36
	v_sub_f32_e32 v8, v41, v43
	scratch_store_b32 off, v10, off offset:560 ; 4-byte Folded Spill
	ds_store_2addr_b64 v5, v[0:1], v[2:3] offset1:27
	v_dual_add_f32 v0, v138, v41 :: v_dual_add_f32 v3, v41, v43
	v_add_f32_e32 v2, v40, v42
	v_and_b32_e32 v4, 0xffff, v4
	ds_store_b64 v5, v[130:131] offset:432
	v_dual_add_f32 v1, v0, v43 :: v_dual_add_f32 v0, v137, v40
	v_fma_f32 v2, -0.5, v2, v137
	v_fma_f32 v3, -0.5, v3, v138
	v_lshlrev_b32_e32 v10, 3, v4
	scratch_store_b32 off, v5, off offset:564 ; 4-byte Folded Spill
	v_add_f32_e32 v0, v0, v42
	v_fmamk_f32 v4, v8, 0x3f5db3d7, v2
	v_dual_fmamk_f32 v5, v9, 0xbf5db3d7, v3 :: v_dual_fmac_f32 v2, 0xbf5db3d7, v8
	v_dual_fmac_f32 v3, 0x3f5db3d7, v9 :: v_dual_sub_f32 v8, v48, v44
	ds_store_2addr_b64 v10, v[0:1], v[4:5] offset1:27
	v_add_f32_e32 v0, v140, v49
	ds_store_b64 v10, v[2:3] offset:432
	v_mad_u16 v2, 0x51, v35, v37
	v_add_f32_e32 v3, v49, v45
	v_dual_add_f32 v5, v48, v44 :: v_dual_sub_f32 v4, v49, v45
	v_dual_add_f32 v1, v0, v45 :: v_dual_add_f32 v0, v139, v48
	s_delay_alu instid0(VALU_DEP_3) | instskip(NEXT) | instid1(VALU_DEP_3)
	v_fmac_f32_e32 v140, -0.5, v3
	v_fma_f32 v139, -0.5, v5, v139
	v_and_b32_e32 v2, 0xffff, v2
	s_delay_alu instid0(VALU_DEP_4) | instskip(NEXT) | instid1(VALU_DEP_4)
	v_add_f32_e32 v0, v0, v44
	v_fmamk_f32 v3, v8, 0xbf5db3d7, v140
	s_delay_alu instid0(VALU_DEP_3)
	v_dual_fmac_f32 v140, 0x3f5db3d7, v8 :: v_dual_lshlrev_b32 v5, 3, v2
	v_fmamk_f32 v2, v4, 0x3f5db3d7, v139
	v_dual_fmac_f32 v139, 0xbf5db3d7, v4 :: v_dual_add_f32 v4, v104, v51
	s_clause 0x1
	scratch_store_b32 off, v10, off offset:568
	scratch_store_b32 off, v5, off offset:572
	ds_store_2addr_b64 v5, v[0:1], v[2:3] offset1:27
	v_mul_f32_e32 v0, v7, v123
	v_mul_f32_e32 v3, v6, v123
	v_add_f32_e32 v1, v103, v50
	ds_store_b64 v5, v[139:140] offset:432
	v_fma_f32 v2, v6, v122, -v0
	v_fmac_f32_e32 v3, v7, v122
	s_delay_alu instid0(VALU_DEP_1) | instskip(SKIP_1) | instid1(VALU_DEP_2)
	v_dual_add_f32 v0, v50, v2 :: v_dual_add_f32 v5, v51, v3
	v_sub_f32_e32 v6, v51, v3
	v_fma_f32 v103, -0.5, v0, v103
	v_dual_add_f32 v0, v1, v2 :: v_dual_add_f32 v1, v4, v3
	v_mad_u16 v4, 0x51, v46, v47
	v_dual_fmac_f32 v104, -0.5, v5 :: v_dual_sub_f32 v5, v50, v2
	s_delay_alu instid0(VALU_DEP_4) | instskip(SKIP_1) | instid1(VALU_DEP_4)
	v_fmamk_f32 v2, v6, 0x3f5db3d7, v103
	v_fmac_f32_e32 v103, 0xbf5db3d7, v6
	v_and_b32_e32 v4, 0xffff, v4
	s_delay_alu instid0(VALU_DEP_4) | instskip(SKIP_1) | instid1(VALU_DEP_3)
	v_fmamk_f32 v3, v5, 0xbf5db3d7, v104
	v_fmac_f32_e32 v104, 0x3f5db3d7, v5
	v_lshlrev_b32_e32 v4, 3, v4
	ds_store_2addr_b64 v4, v[0:1], v[2:3] offset1:27
	v_mul_u32_u24_e32 v1, 0x6523, v97
	v_mul_lo_u16 v0, 0xcb, v98
	scratch_store_b32 off, v4, off offset:580 ; 4-byte Folded Spill
	ds_store_b64 v4, v[103:104] offset:432
	global_wb scope:SCOPE_SE
	s_wait_storecnt_dscnt 0x0
	v_lshrrev_b32_e32 v137, 21, v1
	v_lshrrev_b16 v148, 14, v0
	s_barrier_signal -1
	s_barrier_wait -1
	global_inv scope:SCOPE_SE
	v_mul_lo_u16 v1, 0x51, v137
	v_mul_lo_u16 v0, 0x51, v148
	s_delay_alu instid0(VALU_DEP_2) | instskip(NEXT) | instid1(VALU_DEP_2)
	v_sub_nc_u16 v138, v234, v1
	v_sub_nc_u16 v0, v96, v0
	s_delay_alu instid0(VALU_DEP_2) | instskip(NEXT) | instid1(VALU_DEP_2)
	v_lshlrev_b16 v1, 4, v138
	v_and_b32_e32 v4, 0xff, v0
	s_delay_alu instid0(VALU_DEP_2) | instskip(NEXT) | instid1(VALU_DEP_2)
	v_and_b32_e32 v1, 0xffff, v1
	v_dual_mov_b32 v55, v56 :: v_dual_lshlrev_b32 v2, 4, v4
	s_delay_alu instid0(VALU_DEP_2)
	v_add_co_u32 v0, s12, s10, v1
	s_wait_alu 0xf1ff
	v_add_co_ci_u32_e64 v1, null, s11, 0, s12
	s_clause 0x1
	global_load_b128 v[100:103], v[0:1], off offset:624
	global_load_b128 v[96:99], v2, s[10:11] offset:624
	ds_load_2addr_b64 v[104:107], v175 offset0:6 offset1:249
	ds_load_2addr_b64 v[124:127], v235 offset0:6 offset1:249
	s_wait_loadcnt_dscnt 0x101
	v_mul_f32_e32 v9, v106, v103
	s_wait_loadcnt 0x0
	v_mul_f32_e32 v0, v105, v99
	s_wait_dscnt 0x0
	v_dual_mul_f32 v6, v104, v99 :: v_dual_mul_f32 v7, v125, v101
	v_dual_mul_f32 v14, v124, v101 :: v_dual_fmac_f32 v9, v107, v102
	s_delay_alu instid0(VALU_DEP_3) | instskip(SKIP_1) | instid1(VALU_DEP_4)
	v_fma_f32 v5, v104, v98, -v0
	v_mul_f32_e32 v0, v107, v103
	v_fmac_f32_e32 v6, v105, v98
	v_fma_f32 v13, v124, v100, -v7
	v_fmac_f32_e32 v14, v125, v100
	s_delay_alu instid0(VALU_DEP_4) | instskip(SKIP_1) | instid1(VALU_DEP_1)
	v_fma_f32 v8, v106, v102, -v0
	v_mul_u32_u24_e32 v0, 0x6523, v135
	v_lshrrev_b32_e32 v139, 21, v0
	v_mul_u32_u24_e32 v0, 0x6523, v132
	s_delay_alu instid0(VALU_DEP_1) | instskip(NEXT) | instid1(VALU_DEP_3)
	v_lshrrev_b32_e32 v10, 21, v0
	v_mul_lo_u16 v0, 0x51, v139
	s_delay_alu instid0(VALU_DEP_1) | instskip(NEXT) | instid1(VALU_DEP_3)
	v_sub_nc_u16 v11, v160, v0
	v_mul_lo_u16 v0, 0x51, v10
	s_delay_alu instid0(VALU_DEP_1) | instskip(NEXT) | instid1(VALU_DEP_3)
	v_sub_nc_u16 v12, v206, v0
	v_lshlrev_b16 v0, 4, v11
	s_delay_alu instid0(VALU_DEP_2) | instskip(NEXT) | instid1(VALU_DEP_2)
	v_lshlrev_b16 v1, 4, v12
	v_and_b32_e32 v0, 0xffff, v0
	s_delay_alu instid0(VALU_DEP_2) | instskip(NEXT) | instid1(VALU_DEP_2)
	v_and_b32_e32 v2, 0xffff, v1
	v_add_co_u32 v0, s12, s10, v0
	s_wait_alu 0xf1ff
	v_add_co_ci_u32_e64 v1, null, s11, 0, s12
	s_delay_alu instid0(VALU_DEP_3)
	v_add_co_u32 v2, s12, s10, v2
	s_wait_alu 0xf1ff
	v_add_co_ci_u32_e64 v3, null, s11, 0, s12
	s_clause 0x1
	global_load_b128 v[104:107], v[0:1], off offset:624
	global_load_b128 v[112:115], v[2:3], off offset:624
	ds_load_2addr_b64 v[140:143], v68 offset0:4 offset1:247
	s_wait_loadcnt 0x1
	v_mul_f32_e32 v0, v127, v105
	v_mul_f32_e32 v16, v126, v105
	s_wait_loadcnt_dscnt 0x0
	v_mul_f32_e32 v7, v141, v113
	v_mul_f32_e32 v26, v140, v113
	v_fma_f32 v15, v126, v104, -v0
	v_fmac_f32_e32 v16, v127, v104
	ds_load_2addr_b64 v[124:127], v191 offset0:12 offset1:255
	v_fma_f32 v25, v140, v112, -v7
	v_fmac_f32_e32 v26, v141, v112
	s_wait_dscnt 0x0
	v_mul_f32_e32 v0, v125, v107
	v_mul_f32_e32 v18, v124, v107
	;; [unrolled: 1-line block ×3, first 2 shown]
	s_delay_alu instid0(VALU_DEP_3) | instskip(SKIP_1) | instid1(VALU_DEP_4)
	v_fma_f32 v17, v124, v106, -v0
	v_mul_f32_e32 v0, v127, v115
	v_fmac_f32_e32 v18, v125, v106
	s_delay_alu instid0(VALU_DEP_4) | instskip(NEXT) | instid1(VALU_DEP_3)
	v_fmac_f32_e32 v20, v127, v114
	v_fma_f32 v19, v126, v114, -v0
	v_mul_u32_u24_e32 v0, 0x6523, v133
	s_delay_alu instid0(VALU_DEP_1) | instskip(SKIP_1) | instid1(VALU_DEP_1)
	v_lshrrev_b32_e32 v21, 21, v0
	v_mul_u32_u24_e32 v0, 0x6523, v134
	v_lshrrev_b32_e32 v22, 21, v0
	s_delay_alu instid0(VALU_DEP_3) | instskip(NEXT) | instid1(VALU_DEP_1)
	v_mul_lo_u16 v0, 0x51, v21
	v_sub_nc_u16 v23, v211, v0
	s_delay_alu instid0(VALU_DEP_3) | instskip(NEXT) | instid1(VALU_DEP_1)
	v_mul_lo_u16 v0, 0x51, v22
	v_sub_nc_u16 v24, v218, v0
	s_delay_alu instid0(VALU_DEP_3) | instskip(NEXT) | instid1(VALU_DEP_2)
	v_lshlrev_b16 v0, 4, v23
	v_lshlrev_b16 v1, 4, v24
	s_delay_alu instid0(VALU_DEP_2) | instskip(NEXT) | instid1(VALU_DEP_2)
	v_and_b32_e32 v0, 0xffff, v0
	v_and_b32_e32 v2, 0xffff, v1
	s_delay_alu instid0(VALU_DEP_2) | instskip(SKIP_2) | instid1(VALU_DEP_3)
	v_add_co_u32 v0, s12, s10, v0
	s_wait_alu 0xf1ff
	v_add_co_ci_u32_e64 v1, null, s11, 0, s12
	v_add_co_u32 v2, s12, s10, v2
	s_wait_alu 0xf1ff
	v_add_co_ci_u32_e64 v3, null, s11, 0, s12
	s_clause 0x1
	global_load_b128 v[124:127], v[0:1], off offset:624
	global_load_b128 v[128:131], v[2:3], off offset:624
	ds_load_2addr_b64 v[149:152], v56 offset0:10 offset1:253
	s_wait_loadcnt 0x1
	v_mul_f32_e32 v0, v143, v125
	v_mul_f32_e32 v28, v142, v125
	s_wait_loadcnt_dscnt 0x0
	v_mul_f32_e32 v7, v150, v129
	v_mul_f32_e32 v38, v149, v129
	v_fma_f32 v27, v142, v124, -v0
	v_fmac_f32_e32 v28, v143, v124
	ds_load_2addr_b64 v[140:143], v62 offset0:2 offset1:245
	v_fma_f32 v37, v149, v128, -v7
	v_fmac_f32_e32 v38, v150, v128
	s_wait_dscnt 0x0
	v_mul_f32_e32 v0, v141, v127
	v_mul_f32_e32 v30, v140, v127
	;; [unrolled: 1-line block ×3, first 2 shown]
	s_delay_alu instid0(VALU_DEP_3) | instskip(SKIP_1) | instid1(VALU_DEP_4)
	v_fma_f32 v29, v140, v126, -v0
	v_mul_f32_e32 v0, v143, v131
	v_fmac_f32_e32 v30, v141, v126
	s_delay_alu instid0(VALU_DEP_4) | instskip(NEXT) | instid1(VALU_DEP_3)
	v_fmac_f32_e32 v32, v143, v130
	v_fma_f32 v31, v142, v130, -v0
	v_mul_u32_u24_e32 v0, 0x6523, v162
	s_delay_alu instid0(VALU_DEP_1) | instskip(SKIP_1) | instid1(VALU_DEP_1)
	v_lshrrev_b32_e32 v33, 21, v0
	v_mul_u32_u24_e32 v0, 0x6523, v161
	v_lshrrev_b32_e32 v34, 21, v0
	s_delay_alu instid0(VALU_DEP_3) | instskip(NEXT) | instid1(VALU_DEP_1)
	v_mul_lo_u16 v0, 0x51, v33
	v_sub_nc_u16 v35, v212, v0
	s_delay_alu instid0(VALU_DEP_3) | instskip(NEXT) | instid1(VALU_DEP_1)
	v_mul_lo_u16 v0, 0x51, v34
	v_sub_nc_u16 v36, v213, v0
	s_delay_alu instid0(VALU_DEP_3) | instskip(NEXT) | instid1(VALU_DEP_2)
	v_lshlrev_b16 v0, 4, v35
	v_lshlrev_b16 v1, 4, v36
	s_delay_alu instid0(VALU_DEP_2) | instskip(NEXT) | instid1(VALU_DEP_2)
	v_and_b32_e32 v0, 0xffff, v0
	v_and_b32_e32 v2, 0xffff, v1
	s_delay_alu instid0(VALU_DEP_2) | instskip(SKIP_2) | instid1(VALU_DEP_3)
	v_add_co_u32 v0, s12, s10, v0
	s_wait_alu 0xf1ff
	v_add_co_ci_u32_e64 v1, null, s11, 0, s12
	v_add_co_u32 v2, s12, s10, v2
	s_wait_alu 0xf1ff
	v_add_co_ci_u32_e64 v3, null, s11, 0, s12
	s_clause 0x1
	global_load_b128 v[140:143], v[0:1], off offset:624
	global_load_b128 v[144:147], v[2:3], off offset:624
	s_wait_loadcnt 0x1
	v_mul_f32_e32 v0, v152, v141
	v_mul_f32_e32 v40, v151, v141
	s_delay_alu instid0(VALU_DEP_2) | instskip(NEXT) | instid1(VALU_DEP_2)
	v_fma_f32 v39, v151, v140, -v0
	v_fmac_f32_e32 v40, v152, v140
	ds_load_2addr_b64 v[149:152], v71 offset0:8 offset1:251
	s_wait_dscnt 0x0
	v_mul_f32_e32 v0, v150, v143
	v_mul_f32_e32 v42, v149, v143
	s_wait_loadcnt 0x0
	v_mul_f32_e32 v44, v151, v147
	s_delay_alu instid0(VALU_DEP_3) | instskip(SKIP_2) | instid1(VALU_DEP_4)
	v_fma_f32 v41, v149, v142, -v0
	v_mul_f32_e32 v0, v152, v147
	v_fmac_f32_e32 v42, v150, v142
	v_fmac_f32_e32 v44, v152, v146
	s_delay_alu instid0(VALU_DEP_3) | instskip(SKIP_3) | instid1(VALU_DEP_1)
	v_fma_f32 v43, v151, v146, -v0
	v_mul_u32_u24_e32 v0, 0x6523, v233
	ds_load_2addr_b64 v[149:152], v57 offset1:243
	v_lshrrev_b32_e32 v45, 21, v0
	v_mul_lo_u16 v0, 0x51, v45
	s_delay_alu instid0(VALU_DEP_1) | instskip(NEXT) | instid1(VALU_DEP_1)
	v_sub_nc_u16 v46, v220, v0
	v_lshlrev_b16 v0, 4, v46
	s_wait_dscnt 0x0
	v_mul_f32_e32 v2, v150, v145
	v_mul_f32_e32 v48, v149, v145
	s_delay_alu instid0(VALU_DEP_3) | instskip(NEXT) | instid1(VALU_DEP_3)
	v_and_b32_e32 v0, 0xffff, v0
	v_fma_f32 v47, v149, v144, -v2
	s_delay_alu instid0(VALU_DEP_3) | instskip(NEXT) | instid1(VALU_DEP_3)
	v_fmac_f32_e32 v48, v150, v144
	v_add_co_u32 v0, s12, s10, v0
	s_wait_alu 0xf1ff
	v_add_co_ci_u32_e64 v1, null, s11, 0, s12
	global_load_b128 v[156:159], v[0:1], off offset:624
	s_wait_loadcnt 0x0
	v_mul_f32_e32 v0, v152, v157
	v_mul_f32_e32 v50, v151, v157
	s_delay_alu instid0(VALU_DEP_2) | instskip(NEXT) | instid1(VALU_DEP_2)
	v_fma_f32 v49, v151, v156, -v0
	v_fmac_f32_e32 v50, v152, v156
	ds_load_2addr_b64 v[149:152], v153 offset0:8 offset1:251
	s_wait_dscnt 0x0
	v_mul_f32_e32 v0, v152, v97
	s_delay_alu instid0(VALU_DEP_1) | instskip(SKIP_1) | instid1(VALU_DEP_2)
	v_fma_f32 v2, v151, v96, -v0
	v_mul_f32_e32 v0, v151, v97
	v_sub_f32_e32 v52, v2, v5
	s_delay_alu instid0(VALU_DEP_2)
	v_fmac_f32_e32 v0, v152, v96
	ds_load_2addr_b64 v[151:154], v64 offset1:243
	v_sub_f32_e32 v51, v0, v6
	v_add_f32_e32 v3, v0, v6
	s_wait_dscnt 0x0
	v_dual_add_f32 v1, v152, v0 :: v_dual_add_f32 v0, v151, v2
	s_delay_alu instid0(VALU_DEP_2) | instskip(NEXT) | instid1(VALU_DEP_2)
	v_fma_f32 v3, -0.5, v3, v152
	v_dual_add_f32 v1, v1, v6 :: v_dual_add_f32 v0, v0, v5
	v_dual_add_f32 v6, v2, v5 :: v_dual_and_b32 v5, 0xffff, v148
	s_delay_alu instid0(VALU_DEP_1) | instskip(NEXT) | instid1(VALU_DEP_2)
	v_fma_f32 v2, -0.5, v6, v151
	v_mul_u32_u24_e32 v5, 0xf3, v5
	s_delay_alu instid0(VALU_DEP_1) | instskip(NEXT) | instid1(VALU_DEP_3)
	v_add_lshl_u32 v53, v5, v4, 3
	v_fmamk_f32 v4, v51, 0x3f5db3d7, v2
	v_dual_fmamk_f32 v5, v52, 0xbf5db3d7, v3 :: v_dual_fmac_f32 v2, 0xbf5db3d7, v51
	v_fmac_f32_e32 v3, 0x3f5db3d7, v52
	scratch_store_b32 off, v53, off offset:612 ; 4-byte Folded Spill
	ds_load_b64 v[6:7], v64 offset:50544
	ds_load_2addr_b64 v[163:166], v190 offset0:6 offset1:249
	ds_load_2addr_b64 v[167:170], v65 offset0:12 offset1:255
	;; [unrolled: 1-line block ×3, first 2 shown]
	global_wb scope:SCOPE_SE
	s_wait_storecnt_dscnt 0x0
	s_barrier_signal -1
	s_barrier_wait -1
	global_inv scope:SCOPE_SE
	ds_store_2addr_b64 v53, v[0:1], v[4:5] offset1:81
	v_add_f32_e32 v0, v154, v14
	ds_store_b64 v53, v[2:3] offset:1296
	v_mad_u16 v2, 0xf3, v137, v138
	v_add_f32_e32 v3, v14, v9
	v_add_f32_e32 v5, v13, v8
	;; [unrolled: 1-line block ×4, first 2 shown]
	v_sub_f32_e32 v4, v14, v9
	v_fmac_f32_e32 v154, -0.5, v3
	v_fma_f32 v153, -0.5, v5, v153
	v_and_b32_e32 v2, 0xffff, v2
	v_add_f32_e32 v0, v0, v8
	v_dual_sub_f32 v8, v13, v8 :: v_dual_sub_f32 v9, v15, v17
	s_delay_alu instid0(VALU_DEP_3) | instskip(NEXT) | instid1(VALU_DEP_2)
	v_dual_fmamk_f32 v2, v4, 0x3f5db3d7, v153 :: v_dual_lshlrev_b32 v5, 3, v2
	v_fmamk_f32 v3, v8, 0xbf5db3d7, v154
	v_fmac_f32_e32 v153, 0xbf5db3d7, v4
	v_mad_u16 v4, 0xf3, v139, v11
	v_fmac_f32_e32 v154, 0x3f5db3d7, v8
	v_sub_f32_e32 v8, v16, v18
	ds_store_2addr_b64 v5, v[0:1], v[2:3] offset1:81
	v_add_f32_e32 v0, v164, v16
	v_dual_add_f32 v3, v16, v18 :: v_dual_add_f32 v2, v15, v17
	v_and_b32_e32 v4, 0xffff, v4
	scratch_store_b32 off, v5, off offset:576 ; 4-byte Folded Spill
	v_dual_add_f32 v1, v0, v18 :: v_dual_add_f32 v0, v163, v15
	v_fma_f32 v2, -0.5, v2, v163
	v_fma_f32 v3, -0.5, v3, v164
	ds_store_b64 v5, v[153:154] offset:1296
	v_dual_add_f32 v0, v0, v17 :: v_dual_lshlrev_b32 v11, 3, v4
	v_fmamk_f32 v4, v8, 0x3f5db3d7, v2
	v_dual_fmamk_f32 v5, v9, 0xbf5db3d7, v3 :: v_dual_fmac_f32 v2, 0xbf5db3d7, v8
	v_dual_fmac_f32 v3, 0x3f5db3d7, v9 :: v_dual_sub_f32 v8, v25, v19
	v_sub_f32_e32 v9, v27, v29
	ds_store_2addr_b64 v11, v[0:1], v[4:5] offset1:81
	v_add_f32_e32 v0, v166, v26
	ds_store_b64 v11, v[2:3] offset:1296
	v_mad_u16 v2, 0xf3, v10, v12
	v_add_f32_e32 v3, v26, v20
	v_dual_add_f32 v5, v25, v19 :: v_dual_sub_f32 v4, v26, v20
	v_dual_add_f32 v1, v0, v20 :: v_dual_add_f32 v0, v165, v25
	s_delay_alu instid0(VALU_DEP_3) | instskip(NEXT) | instid1(VALU_DEP_3)
	v_fmac_f32_e32 v166, -0.5, v3
	v_fma_f32 v165, -0.5, v5, v165
	v_and_b32_e32 v2, 0xffff, v2
	s_delay_alu instid0(VALU_DEP_4) | instskip(NEXT) | instid1(VALU_DEP_4)
	v_add_f32_e32 v0, v0, v19
	v_fmamk_f32 v3, v8, 0xbf5db3d7, v166
	s_delay_alu instid0(VALU_DEP_3)
	v_dual_fmac_f32 v166, 0x3f5db3d7, v8 :: v_dual_lshlrev_b32 v5, 3, v2
	v_fmamk_f32 v2, v4, 0x3f5db3d7, v165
	v_fmac_f32_e32 v165, 0xbf5db3d7, v4
	v_mad_u16 v4, 0xf3, v21, v23
	v_sub_f32_e32 v8, v28, v30
	scratch_store_b32 off, v11, off offset:584 ; 4-byte Folded Spill
	ds_store_2addr_b64 v5, v[0:1], v[2:3] offset1:81
	v_add_f32_e32 v0, v168, v28
	v_dual_add_f32 v3, v28, v30 :: v_dual_add_f32 v2, v27, v29
	v_and_b32_e32 v4, 0xffff, v4
	ds_store_b64 v5, v[165:166] offset:1296
	v_dual_add_f32 v1, v0, v30 :: v_dual_add_f32 v0, v167, v27
	v_fma_f32 v2, -0.5, v2, v167
	v_fma_f32 v3, -0.5, v3, v168
	v_lshlrev_b32_e32 v10, 3, v4
	scratch_store_b32 off, v5, off offset:588 ; 4-byte Folded Spill
	v_add_f32_e32 v0, v0, v29
	v_fmamk_f32 v4, v8, 0x3f5db3d7, v2
	v_dual_fmamk_f32 v5, v9, 0xbf5db3d7, v3 :: v_dual_fmac_f32 v2, 0xbf5db3d7, v8
	v_dual_fmac_f32 v3, 0x3f5db3d7, v9 :: v_dual_sub_f32 v8, v37, v31
	v_sub_f32_e32 v9, v39, v41
	ds_store_2addr_b64 v10, v[0:1], v[4:5] offset1:81
	v_add_f32_e32 v0, v170, v38
	ds_store_b64 v10, v[2:3] offset:1296
	v_mad_u16 v2, 0xf3, v22, v24
	v_add_f32_e32 v3, v38, v32
	v_dual_add_f32 v5, v37, v31 :: v_dual_sub_f32 v4, v38, v32
	v_dual_add_f32 v1, v0, v32 :: v_dual_add_f32 v0, v169, v37
	s_delay_alu instid0(VALU_DEP_3) | instskip(NEXT) | instid1(VALU_DEP_3)
	v_fmac_f32_e32 v170, -0.5, v3
	v_fma_f32 v169, -0.5, v5, v169
	v_and_b32_e32 v2, 0xffff, v2
	s_delay_alu instid0(VALU_DEP_4) | instskip(NEXT) | instid1(VALU_DEP_4)
	v_add_f32_e32 v0, v0, v31
	v_fmamk_f32 v3, v8, 0xbf5db3d7, v170
	s_delay_alu instid0(VALU_DEP_3)
	v_dual_fmac_f32 v170, 0x3f5db3d7, v8 :: v_dual_lshlrev_b32 v5, 3, v2
	v_fmamk_f32 v2, v4, 0x3f5db3d7, v169
	v_fmac_f32_e32 v169, 0xbf5db3d7, v4
	v_mad_u16 v4, 0xf3, v33, v35
	v_sub_f32_e32 v8, v40, v42
	scratch_store_b32 off, v10, off offset:592 ; 4-byte Folded Spill
	ds_store_2addr_b64 v5, v[0:1], v[2:3] offset1:81
	v_add_f32_e32 v0, v172, v40
	v_dual_add_f32 v3, v40, v42 :: v_dual_add_f32 v2, v39, v41
	v_and_b32_e32 v4, 0xffff, v4
	ds_store_b64 v5, v[169:170] offset:1296
	v_dual_add_f32 v1, v0, v42 :: v_dual_add_f32 v0, v171, v39
	v_fma_f32 v2, -0.5, v2, v171
	v_fma_f32 v3, -0.5, v3, v172
	v_lshlrev_b32_e32 v10, 3, v4
	scratch_store_b32 off, v5, off offset:596 ; 4-byte Folded Spill
	v_add_f32_e32 v0, v0, v41
	v_fmamk_f32 v4, v8, 0x3f5db3d7, v2
	v_dual_fmamk_f32 v5, v9, 0xbf5db3d7, v3 :: v_dual_fmac_f32 v2, 0xbf5db3d7, v8
	v_dual_fmac_f32 v3, 0x3f5db3d7, v9 :: v_dual_sub_f32 v8, v47, v43
	ds_store_2addr_b64 v10, v[0:1], v[4:5] offset1:81
	v_add_f32_e32 v0, v174, v48
	ds_store_b64 v10, v[2:3] offset:1296
	v_mad_u16 v2, 0xf3, v34, v36
	v_add_f32_e32 v3, v48, v44
	v_dual_add_f32 v5, v47, v43 :: v_dual_sub_f32 v4, v48, v44
	v_dual_add_f32 v1, v0, v44 :: v_dual_add_f32 v0, v173, v47
	s_delay_alu instid0(VALU_DEP_3) | instskip(NEXT) | instid1(VALU_DEP_3)
	v_fmac_f32_e32 v174, -0.5, v3
	v_fma_f32 v173, -0.5, v5, v173
	s_delay_alu instid0(VALU_DEP_3) | instskip(NEXT) | instid1(VALU_DEP_3)
	v_dual_add_f32 v0, v0, v43 :: v_dual_and_b32 v5, 0xffff, v2
	v_fmamk_f32 v3, v8, 0xbf5db3d7, v174
	s_delay_alu instid0(VALU_DEP_2)
	v_dual_fmamk_f32 v2, v4, 0x3f5db3d7, v173 :: v_dual_lshlrev_b32 v5, 3, v5
	v_dual_fmac_f32 v173, 0xbf5db3d7, v4 :: v_dual_add_f32 v4, v150, v50
	v_fmac_f32_e32 v174, 0x3f5db3d7, v8
	scratch_store_b32 off, v10, off offset:600 ; 4-byte Folded Spill
	ds_store_2addr_b64 v5, v[0:1], v[2:3] offset1:81
	v_mul_f32_e32 v0, v7, v159
	v_mul_f32_e32 v3, v6, v159
	v_add_f32_e32 v1, v149, v49
	ds_store_b64 v5, v[173:174] offset:1296
	v_fma_f32 v2, v6, v158, -v0
	v_fmac_f32_e32 v3, v7, v158
	s_delay_alu instid0(VALU_DEP_2) | instskip(NEXT) | instid1(VALU_DEP_2)
	v_add_f32_e32 v0, v49, v2
	v_sub_f32_e32 v6, v50, v3
	s_delay_alu instid0(VALU_DEP_2) | instskip(SKIP_2) | instid1(VALU_DEP_1)
	v_fma_f32 v149, -0.5, v0, v149
	v_dual_add_f32 v0, v1, v2 :: v_dual_add_f32 v1, v4, v3
	v_mad_u16 v4, 0xf3, v45, v46
	v_and_b32_e32 v4, 0xffff, v4
	s_delay_alu instid0(VALU_DEP_1)
	v_lshlrev_b32_e32 v4, 3, v4
	scratch_store_b32 off, v5, off offset:604 ; 4-byte Folded Spill
	v_dual_add_f32 v5, v50, v3 :: v_dual_mov_b32 v50, v65
	scratch_store_b32 off, v4, off offset:608 ; 4-byte Folded Spill
	v_dual_fmac_f32 v150, -0.5, v5 :: v_dual_sub_f32 v5, v49, v2
	v_fmamk_f32 v2, v6, 0x3f5db3d7, v149
	v_fmac_f32_e32 v149, 0xbf5db3d7, v6
	s_delay_alu instid0(VALU_DEP_3)
	v_fmamk_f32 v3, v5, 0xbf5db3d7, v150
	v_fmac_f32_e32 v150, 0x3f5db3d7, v5
	ds_store_2addr_b64 v4, v[0:1], v[2:3] offset1:81
	v_mul_u32_u24_e32 v0, 0xdb3, v135
	ds_store_b64 v4, v[149:150] offset:1296
	global_wb scope:SCOPE_SE
	s_wait_storecnt_dscnt 0x0
	s_barrier_signal -1
	s_barrier_wait -1
	v_lshrrev_b32_e32 v0, 16, v0
	global_inv scope:SCOPE_SE
	v_sub_nc_u16 v1, v160, v0
	s_delay_alu instid0(VALU_DEP_1) | instskip(NEXT) | instid1(VALU_DEP_1)
	v_lshrrev_b16 v1, 1, v1
	v_add_nc_u16 v0, v1, v0
	s_delay_alu instid0(VALU_DEP_1) | instskip(NEXT) | instid1(VALU_DEP_1)
	v_lshrrev_b16 v0, 7, v0
	v_mul_lo_u16 v0, 0xf3, v0
	s_delay_alu instid0(VALU_DEP_1) | instskip(NEXT) | instid1(VALU_DEP_1)
	v_sub_nc_u16 v18, v160, v0
	v_lshlrev_b16 v0, 4, v18
	s_delay_alu instid0(VALU_DEP_1) | instskip(NEXT) | instid1(VALU_DEP_1)
	v_and_b32_e32 v0, 0xffff, v0
	v_add_co_u32 v0, s12, s10, v0
	s_wait_alu 0xf1ff
	v_add_co_ci_u32_e64 v1, null, s11, 0, s12
	s_clause 0x1
	global_load_b128 v[152:155], v[0:1], off offset:1920
	global_load_b128 v[148:151], v219, s[10:11] offset:1920
	ds_load_2addr_b64 v[163:166], v175 offset0:6 offset1:249
	ds_load_2addr_b64 v[186:189], v64 offset1:243
	s_wait_loadcnt_dscnt 0x1
	v_mul_f32_e32 v1, v166, v151
	v_mul_f32_e32 v0, v164, v151
	v_mul_f32_e32 v20, v165, v151
	s_delay_alu instid0(VALU_DEP_3) | instskip(SKIP_1) | instid1(VALU_DEP_4)
	v_fma_f32 v19, v165, v150, -v1
	v_mul_u32_u24_e32 v1, 0xdb3, v132
	v_fma_f32 v2, v163, v150, -v0
	v_mul_f32_e32 v0, v163, v151
	v_fmac_f32_e32 v20, v166, v150
	s_delay_alu instid0(VALU_DEP_4) | instskip(NEXT) | instid1(VALU_DEP_3)
	v_lshrrev_b32_e32 v1, 16, v1
	v_fmac_f32_e32 v0, v164, v150
	s_delay_alu instid0(VALU_DEP_2) | instskip(NEXT) | instid1(VALU_DEP_1)
	v_sub_nc_u16 v3, v206, v1
	v_lshrrev_b16 v3, 1, v3
	s_delay_alu instid0(VALU_DEP_1) | instskip(SKIP_1) | instid1(VALU_DEP_2)
	v_add_nc_u16 v4, v3, v1
	v_mul_u32_u24_e32 v1, 0xdb3, v133
	v_lshrrev_b16 v4, 7, v4
	s_delay_alu instid0(VALU_DEP_2) | instskip(NEXT) | instid1(VALU_DEP_2)
	v_lshrrev_b32_e32 v1, 16, v1
	v_mul_lo_u16 v4, 0xf3, v4
	s_delay_alu instid0(VALU_DEP_2) | instskip(NEXT) | instid1(VALU_DEP_2)
	v_sub_nc_u16 v3, v211, v1
	v_sub_nc_u16 v23, v206, v4
	s_delay_alu instid0(VALU_DEP_2) | instskip(NEXT) | instid1(VALU_DEP_2)
	v_lshrrev_b16 v3, 1, v3
	v_lshlrev_b16 v4, 4, v23
	s_delay_alu instid0(VALU_DEP_2)
	v_add_nc_u16 v5, v3, v1
	v_mul_u32_u24_e32 v1, 0xdb3, v134
	ds_load_2addr_b64 v[132:135], v58 offset0:8 offset1:251
	v_and_b32_e32 v4, 0xffff, v4
	v_lshrrev_b16 v5, 7, v5
	v_lshrrev_b32_e32 v1, 16, v1
	s_delay_alu instid0(VALU_DEP_3) | instskip(NEXT) | instid1(VALU_DEP_2)
	v_add_co_u32 v4, s12, s10, v4
	v_sub_nc_u16 v3, v218, v1
	s_delay_alu instid0(VALU_DEP_4) | instskip(NEXT) | instid1(VALU_DEP_2)
	v_mul_lo_u16 v5, 0xf3, v5
	v_lshrrev_b16 v3, 1, v3
	s_delay_alu instid0(VALU_DEP_2) | instskip(NEXT) | instid1(VALU_DEP_2)
	v_sub_nc_u16 v24, v211, v5
	v_add_nc_u16 v6, v3, v1
	v_mul_u32_u24_e32 v1, 0xdb3, v162
	s_delay_alu instid0(VALU_DEP_3) | instskip(NEXT) | instid1(VALU_DEP_3)
	v_lshlrev_b16 v5, 4, v24
	v_lshrrev_b16 v6, 7, v6
	s_delay_alu instid0(VALU_DEP_3) | instskip(NEXT) | instid1(VALU_DEP_2)
	v_lshrrev_b32_e32 v1, 16, v1
	v_mul_lo_u16 v6, 0xf3, v6
	s_delay_alu instid0(VALU_DEP_2) | instskip(NEXT) | instid1(VALU_DEP_2)
	v_sub_nc_u16 v3, v212, v1
	v_sub_nc_u16 v25, v218, v6
	s_delay_alu instid0(VALU_DEP_2) | instskip(SKIP_1) | instid1(VALU_DEP_3)
	v_lshrrev_b16 v3, 1, v3
	v_and_b32_e32 v6, 0xffff, v5
	v_lshlrev_b16 v5, 4, v25
	s_delay_alu instid0(VALU_DEP_3) | instskip(SKIP_1) | instid1(VALU_DEP_2)
	v_add_nc_u16 v7, v3, v1
	v_mul_u32_u24_e32 v1, 0xdb3, v161
	v_lshrrev_b16 v7, 7, v7
	s_delay_alu instid0(VALU_DEP_2) | instskip(NEXT) | instid1(VALU_DEP_2)
	v_lshrrev_b32_e32 v1, 16, v1
	v_mul_lo_u16 v7, 0xf3, v7
	s_delay_alu instid0(VALU_DEP_2) | instskip(NEXT) | instid1(VALU_DEP_2)
	v_sub_nc_u16 v3, v213, v1
	v_sub_nc_u16 v26, v212, v7
	s_delay_alu instid0(VALU_DEP_2) | instskip(NEXT) | instid1(VALU_DEP_1)
	v_lshrrev_b16 v3, 1, v3
	v_add_nc_u16 v8, v3, v1
	v_mul_u32_u24_e32 v1, 0xdb3, v233
	s_delay_alu instid0(VALU_DEP_2) | instskip(NEXT) | instid1(VALU_DEP_2)
	v_lshrrev_b16 v8, 7, v8
	v_lshrrev_b32_e32 v1, 16, v1
	s_delay_alu instid0(VALU_DEP_2) | instskip(NEXT) | instid1(VALU_DEP_2)
	v_mul_lo_u16 v8, 0xf3, v8
	v_sub_nc_u16 v3, v220, v1
	s_delay_alu instid0(VALU_DEP_2) | instskip(NEXT) | instid1(VALU_DEP_2)
	v_sub_nc_u16 v27, v213, v8
	v_lshrrev_b16 v3, 1, v3
	v_and_b32_e32 v8, 0xffff, v5
	v_lshlrev_b16 v5, 4, v26
	s_delay_alu instid0(VALU_DEP_3) | instskip(SKIP_2) | instid1(VALU_DEP_2)
	v_add_nc_u16 v9, v3, v1
	s_wait_dscnt 0x0
	v_mul_f32_e32 v1, v135, v149
	v_lshrrev_b16 v9, 7, v9
	s_delay_alu instid0(VALU_DEP_2) | instskip(SKIP_1) | instid1(VALU_DEP_3)
	v_fma_f32 v3, v134, v148, -v1
	v_mul_f32_e32 v1, v134, v149
	v_mul_lo_u16 v9, 0xf3, v9
	s_delay_alu instid0(VALU_DEP_3) | instskip(NEXT) | instid1(VALU_DEP_3)
	v_sub_f32_e32 v22, v3, v2
	v_fmac_f32_e32 v1, v135, v148
	s_delay_alu instid0(VALU_DEP_3) | instskip(NEXT) | instid1(VALU_DEP_2)
	v_sub_nc_u16 v28, v220, v9
	v_dual_add_f32 v10, v187, v1 :: v_dual_sub_f32 v21, v1, v0
	v_add_f32_e32 v11, v1, v0
	s_delay_alu instid0(VALU_DEP_2) | instskip(SKIP_2) | instid1(VALU_DEP_4)
	v_add_f32_e32 v1, v10, v0
	v_add_f32_e32 v0, v186, v3
	v_add_f32_e32 v10, v3, v2
	v_fma_f32 v3, -0.5, v11, v187
	s_delay_alu instid0(VALU_DEP_3) | instskip(NEXT) | instid1(VALU_DEP_3)
	v_add_f32_e32 v0, v0, v2
	v_fma_f32 v2, -0.5, v10, v186
	v_and_b32_e32 v10, 0xffff, v5
	v_lshlrev_b16 v5, 4, v27
	v_fmamk_f32 v17, v22, 0xbf5db3d7, v3
	s_delay_alu instid0(VALU_DEP_4) | instskip(SKIP_1) | instid1(VALU_DEP_4)
	v_dual_fmac_f32 v3, 0x3f5db3d7, v22 :: v_dual_fmamk_f32 v16, v21, 0x3f5db3d7, v2
	v_fmac_f32_e32 v2, 0xbf5db3d7, v21
	v_and_b32_e32 v12, 0xffff, v5
	v_lshlrev_b16 v5, 4, v28
	s_delay_alu instid0(VALU_DEP_1)
	v_and_b32_e32 v14, 0xffff, v5
	s_wait_alu 0xf1ff
	v_add_co_ci_u32_e64 v5, null, s11, 0, s12
	v_add_co_u32 v6, s12, s10, v6
	s_wait_alu 0xf1ff
	v_add_co_ci_u32_e64 v7, null, s11, 0, s12
	v_add_co_u32 v8, s12, s10, v8
	;; [unrolled: 3-line block ×5, first 2 shown]
	s_wait_alu 0xf1ff
	v_add_co_ci_u32_e64 v15, null, s11, 0, s12
	s_clause 0x5
	global_load_b128 v[164:167], v[4:5], off offset:1920
	global_load_b128 v[168:171], v[6:7], off offset:1920
	;; [unrolled: 1-line block ×6, first 2 shown]
	ds_load_b64 v[4:5], v64 offset:50544
	ds_load_2addr_b64 v[194:197], v235 offset0:6 offset1:249
	v_mov_b32_e32 v8, v190
	ds_load_2addr_b64 v[198:201], v190 offset0:6 offset1:249
	ds_load_2addr_b64 v[207:210], v191 offset0:12 offset1:255
	;; [unrolled: 1-line block ×8, first 2 shown]
	ds_load_2addr_b64 v[134:137], v57 offset1:243
	global_wb scope:SCOPE_SE
	s_wait_loadcnt_dscnt 0x0
	s_barrier_signal -1
	s_barrier_wait -1
	global_inv scope:SCOPE_SE
	ds_store_2addr_b64 v64, v[0:1], v[16:17] offset1:243
	v_dual_mov_b32 v49, v8 :: v_dual_mov_b32 v56, v235
	s_delay_alu instid0(VALU_DEP_1) | instskip(SKIP_1) | instid1(VALU_DEP_2)
	v_dual_mov_b32 v61, v49 :: v_dual_mul_f32 v0, v195, v149
	v_mul_f32_e32 v7, v194, v149
	v_fma_f32 v6, v194, v148, -v0
	s_delay_alu instid0(VALU_DEP_1) | instskip(NEXT) | instid1(VALU_DEP_1)
	v_dual_fmac_f32 v7, v195, v148 :: v_dual_add_f32 v0, v188, v6
	v_add_f32_e32 v1, v189, v7
	s_delay_alu instid0(VALU_DEP_1) | instskip(SKIP_4) | instid1(VALU_DEP_3)
	v_dual_add_f32 v0, v0, v19 :: v_dual_add_f32 v1, v1, v20
	ds_store_2addr_b64 v8, v[2:3], v[0:1] offset0:6 offset1:249
	v_add_f32_e32 v2, v6, v19
	v_add_f32_e32 v0, v7, v20
	v_sub_f32_e32 v1, v7, v20
	v_fma_f32 v188, -0.5, v2, v188
	s_delay_alu instid0(VALU_DEP_3) | instskip(NEXT) | instid1(VALU_DEP_2)
	v_dual_sub_f32 v2, v6, v19 :: v_dual_fmac_f32 v189, -0.5, v0
	v_fmamk_f32 v0, v1, 0x3f5db3d7, v188
	s_delay_alu instid0(VALU_DEP_2) | instskip(SKIP_3) | instid1(VALU_DEP_1)
	v_dual_fmac_f32 v188, 0xbf5db3d7, v1 :: v_dual_fmamk_f32 v1, v2, 0xbf5db3d7, v189
	v_fmac_f32_e32 v189, 0x3f5db3d7, v2
	ds_store_2addr_b64 v65, v[0:1], v[188:189] offset0:12 offset1:255
	v_dual_mul_f32 v0, v197, v153 :: v_dual_mul_f32 v1, v208, v155
	v_fma_f32 v2, v196, v152, -v0
	v_mul_f32_e32 v0, v196, v153
	s_delay_alu instid0(VALU_DEP_3) | instskip(NEXT) | instid1(VALU_DEP_2)
	v_fma_f32 v3, v207, v154, -v1
	v_dual_mul_f32 v1, v207, v155 :: v_dual_fmac_f32 v0, v197, v152
	s_delay_alu instid0(VALU_DEP_1) | instskip(NEXT) | instid1(VALU_DEP_1)
	v_dual_sub_f32 v38, v2, v3 :: v_dual_fmac_f32 v1, v208, v154
	v_sub_f32_e32 v37, v0, v1
	v_dual_add_f32 v7, v0, v1 :: v_dual_mul_f32 v6, v210, v167
	v_mul_f32_e32 v9, v209, v167
	v_mul_f32_e32 v11, v214, v165
	;; [unrolled: 1-line block ×4, first 2 shown]
	v_fma_f32 v8, v209, v166, -v6
	v_dual_mul_f32 v6, v215, v165 :: v_dual_fmac_f32 v9, v210, v166
	v_fmac_f32_e32 v11, v215, v164
	v_fmac_f32_e32 v13, v217, v168
	;; [unrolled: 1-line block ×3, first 2 shown]
	s_delay_alu instid0(VALU_DEP_4) | instskip(SKIP_4) | instid1(VALU_DEP_4)
	v_fma_f32 v10, v214, v164, -v6
	v_dual_mul_f32 v6, v217, v169 :: v_dual_mul_f32 v17, v227, v175
	v_mul_f32_e32 v20, v229, v173
	v_mul_f32_e32 v22, v231, v177
	;; [unrolled: 1-line block ×3, first 2 shown]
	v_fma_f32 v12, v216, v168, -v6
	v_dual_mul_f32 v6, v226, v171 :: v_dual_fmac_f32 v17, v228, v174
	v_fmac_f32_e32 v20, v230, v172
	v_fmac_f32_e32 v22, v232, v176
	v_fmac_f32_e32 v30, v203, v178
	s_delay_alu instid0(VALU_DEP_4) | instskip(SKIP_4) | instid1(VALU_DEP_4)
	v_fma_f32 v14, v225, v170, -v6
	v_mul_f32_e32 v6, v228, v175
	v_mul_f32_e32 v34, v134, v181
	;; [unrolled: 1-line block ×4, first 2 shown]
	v_fma_f32 v16, v227, v174, -v6
	v_mul_f32_e32 v6, v230, v173
	v_fmac_f32_e32 v34, v135, v180
	v_fmac_f32_e32 v32, v205, v182
	;; [unrolled: 1-line block ×3, first 2 shown]
	s_delay_alu instid0(VALU_DEP_4) | instskip(SKIP_1) | instid1(VALU_DEP_1)
	v_fma_f32 v19, v229, v172, -v6
	v_mul_f32_e32 v6, v232, v177
	v_fma_f32 v21, v231, v176, -v6
	v_mul_f32_e32 v6, v203, v179
	s_delay_alu instid0(VALU_DEP_1) | instskip(SKIP_1) | instid1(VALU_DEP_1)
	v_fma_f32 v29, v202, v178, -v6
	v_mul_f32_e32 v6, v205, v183
	v_fma_f32 v31, v204, v182, -v6
	v_mul_f32_e32 v6, v135, v181
	v_lshlrev_b32_e32 v204, 4, v160
	s_delay_alu instid0(VALU_DEP_2) | instskip(SKIP_1) | instid1(VALU_DEP_1)
	v_fma_f32 v33, v134, v180, -v6
	v_mul_f32_e32 v6, v137, v185
	v_fma_f32 v35, v136, v184, -v6
	v_add_f32_e32 v6, v199, v0
	v_add_f32_e32 v0, v198, v2
	s_delay_alu instid0(VALU_DEP_2) | instskip(SKIP_1) | instid1(VALU_DEP_3)
	v_add_f32_e32 v1, v6, v1
	v_add_f32_e32 v6, v2, v3
	;; [unrolled: 1-line block ×3, first 2 shown]
	v_fma_f32 v3, -0.5, v7, v199
	s_delay_alu instid0(VALU_DEP_3) | instskip(SKIP_1) | instid1(VALU_DEP_3)
	v_fma_f32 v2, -0.5, v6, v198
	v_and_b32_e32 v6, 0xffff, v18
	v_fmamk_f32 v7, v38, 0xbf5db3d7, v3
	v_fmac_f32_e32 v3, 0x3f5db3d7, v38
	s_delay_alu instid0(VALU_DEP_3) | instskip(SKIP_2) | instid1(VALU_DEP_3)
	v_lshlrev_b32_e32 v18, 3, v6
	v_fmamk_f32 v6, v37, 0x3f5db3d7, v2
	v_fmac_f32_e32 v2, 0xbf5db3d7, v37
	v_dual_mov_b32 v39, v18 :: v_dual_add_nc_u32 v40, 0x2d80, v18
	v_sub_f32_e32 v18, v11, v9
	ds_store_2addr_b64 v40, v[0:1], v[6:7] offset0:2 offset1:245
	v_add_f32_e32 v0, v201, v11
	v_dual_add_f32 v6, v11, v9 :: v_dual_add_f32 v7, v10, v8
	v_sub_f32_e32 v11, v13, v15
	s_delay_alu instid0(VALU_DEP_3) | instskip(SKIP_1) | instid1(VALU_DEP_4)
	v_add_f32_e32 v1, v0, v9
	v_add_f32_e32 v0, v200, v10
	v_dual_fmac_f32 v201, -0.5, v6 :: v_dual_and_b32 v6, 0xffff, v23
	v_sub_f32_e32 v10, v10, v8
	v_fma_f32 v200, -0.5, v7, v200
	s_delay_alu instid0(VALU_DEP_4) | instskip(NEXT) | instid1(VALU_DEP_3)
	v_add_f32_e32 v0, v0, v8
	v_dual_fmamk_f32 v7, v10, 0xbf5db3d7, v201 :: v_dual_lshlrev_b32 v8, 3, v6
	s_delay_alu instid0(VALU_DEP_3) | instskip(SKIP_1) | instid1(VALU_DEP_3)
	v_dual_fmamk_f32 v6, v18, 0x3f5db3d7, v200 :: v_dual_fmac_f32 v201, 0x3f5db3d7, v10
	v_and_b32_e32 v10, 0xffff, v26
	v_add_nc_u32_e32 v9, 0x4400, v8
	scratch_store_b32 off, v40, off offset:616 ; 4-byte Folded Spill
	v_mov_b32_e32 v40, v8
	v_and_b32_e32 v8, 0xffff, v24
	v_fmac_f32_e32 v200, 0xbf5db3d7, v18
	ds_store_2addr_b64 v9, v[0:1], v[6:7] offset0:11 offset1:254
	v_dual_add_f32 v0, v222, v13 :: v_dual_add_f32 v7, v13, v15
	v_dual_add_f32 v6, v12, v14 :: v_dual_lshlrev_b32 v13, 3, v8
	s_delay_alu instid0(VALU_DEP_2) | instskip(SKIP_1) | instid1(VALU_DEP_3)
	v_dual_add_f32 v1, v0, v15 :: v_dual_add_f32 v0, v221, v12
	v_sub_f32_e32 v12, v12, v14
	v_fma_f32 v6, -0.5, v6, v221
	v_fma_f32 v7, -0.5, v7, v222
	s_delay_alu instid0(VALU_DEP_4)
	v_dual_mov_b32 v23, v13 :: v_dual_add_f32 v0, v0, v14
	v_add_nc_u32_e32 v14, 0x5b00, v13
	scratch_store_b32 off, v9, off offset:620 ; 4-byte Folded Spill
	v_fmamk_f32 v8, v11, 0x3f5db3d7, v6
	v_fmamk_f32 v9, v12, 0xbf5db3d7, v7
	s_clause 0x3
	scratch_store_b32 off, v39, off offset:648
	scratch_store_b32 off, v23, off offset:652
	;; [unrolled: 1-line block ×4, first 2 shown]
	ds_store_2addr_b64 v14, v[0:1], v[8:9] offset0:4 offset1:247
	v_add_f32_e32 v8, v20, v17
	v_add_f32_e32 v0, v224, v20
	;; [unrolled: 1-line block ×3, first 2 shown]
	v_dual_sub_f32 v13, v20, v17 :: v_dual_sub_f32 v14, v19, v16
	s_delay_alu instid0(VALU_DEP_4) | instskip(SKIP_3) | instid1(VALU_DEP_4)
	v_fmac_f32_e32 v224, -0.5, v8
	v_and_b32_e32 v8, 0xffff, v25
	v_dual_add_f32 v1, v0, v17 :: v_dual_add_f32 v0, v223, v19
	v_fma_f32 v223, -0.5, v9, v223
	v_fmamk_f32 v9, v14, 0xbf5db3d7, v224
	s_delay_alu instid0(VALU_DEP_4)
	v_lshlrev_b32_e32 v15, 3, v8
	v_fmac_f32_e32 v7, 0x3f5db3d7, v12
	v_add_f32_e32 v0, v0, v16
	v_fmamk_f32 v8, v13, 0x3f5db3d7, v223
	v_fmac_f32_e32 v223, 0xbf5db3d7, v13
	v_add_nc_u32_e32 v16, 0x71c0, v15
	s_clause 0x1
	scratch_store_b32 off, v16, off offset:628
	scratch_store_b32 off, v15, off offset:636
	ds_store_2addr_b64 v16, v[0:1], v[8:9] offset0:5 offset1:248
	v_add_f32_e32 v0, v191, v22
	v_dual_add_f32 v9, v22, v30 :: v_dual_add_f32 v8, v21, v29
	v_fmac_f32_e32 v224, 0x3f5db3d7, v14
	v_sub_f32_e32 v12, v22, v30
	s_delay_alu instid0(VALU_DEP_4)
	v_dual_add_f32 v1, v0, v30 :: v_dual_add_f32 v0, v190, v21
	v_sub_f32_e32 v13, v21, v29
	v_fma_f32 v8, -0.5, v8, v190
	v_fma_f32 v9, -0.5, v9, v191
	v_lshlrev_b32_e32 v14, 3, v10
	v_fmac_f32_e32 v6, 0xbf5db3d7, v11
	ds_store_b64 v40, v[200:201] offset:21384
	ds_store_b64 v15, v[223:224] offset:33048
	v_add_f32_e32 v0, v0, v29
	v_fmamk_f32 v10, v12, 0x3f5db3d7, v8
	v_fmamk_f32 v11, v13, 0xbf5db3d7, v9
	v_dual_mov_b32 v16, v14 :: v_dual_add_nc_u32 v15, 0x8880, v14
	v_sub_f32_e32 v14, v34, v32
	v_fmac_f32_e32 v8, 0xbf5db3d7, v12
	v_fmac_f32_e32 v9, 0x3f5db3d7, v13
	ds_store_2addr_b64 v15, v[0:1], v[10:11] offset0:6 offset1:249
	v_dual_add_f32 v0, v33, v31 :: v_dual_add_f32 v1, v192, v33
	v_add_f32_e32 v10, v193, v34
	s_clause 0x1
	scratch_store_b32 off, v15, off offset:640
	scratch_store_b32 off, v16, off offset:656
	v_fma_f32 v192, -0.5, v0, v192
	v_dual_add_f32 v0, v1, v31 :: v_dual_add_f32 v1, v10, v32
	v_dual_add_f32 v10, v34, v32 :: v_dual_sub_f32 v15, v33, v31
	s_delay_alu instid0(VALU_DEP_1) | instskip(NEXT) | instid1(VALU_DEP_1)
	v_dual_fmac_f32 v193, -0.5, v10 :: v_dual_and_b32 v10, 0xffff, v27
	v_fmamk_f32 v11, v15, 0xbf5db3d7, v193
	s_delay_alu instid0(VALU_DEP_2) | instskip(SKIP_2) | instid1(VALU_DEP_3)
	v_dual_fmamk_f32 v10, v14, 0x3f5db3d7, v192 :: v_dual_lshlrev_b32 v17, 3, v10
	v_fmac_f32_e32 v192, 0xbf5db3d7, v14
	v_fmac_f32_e32 v193, 0x3f5db3d7, v15
	v_add_nc_u32_e32 v18, 0x9f40, v17
	s_clause 0x1
	scratch_store_b32 off, v18, off offset:644
	scratch_store_b32 off, v17, off offset:660
	ds_store_2addr_b64 v18, v[0:1], v[10:11] offset0:7 offset1:250
	v_mul_f32_e32 v0, v5, v187
	v_add_f32_e32 v1, v132, v35
	s_delay_alu instid0(VALU_DEP_2) | instskip(SKIP_1) | instid1(VALU_DEP_2)
	v_fma_f32 v10, v4, v186, -v0
	v_mul_f32_e32 v4, v4, v187
	v_add_f32_e32 v0, v35, v10
	s_delay_alu instid0(VALU_DEP_2) | instskip(SKIP_1) | instid1(VALU_DEP_3)
	v_fmac_f32_e32 v4, v5, v186
	v_add_f32_e32 v5, v133, v36
	v_fma_f32 v132, -0.5, v0, v132
	v_add_f32_e32 v0, v1, v10
	s_delay_alu instid0(VALU_DEP_3) | instskip(SKIP_3) | instid1(VALU_DEP_3)
	v_add_f32_e32 v1, v5, v4
	v_add_f32_e32 v5, v36, v4
	v_sub_f32_e32 v11, v36, v4
	v_and_b32_e32 v4, 0xffff, v28
	v_dual_sub_f32 v10, v35, v10 :: v_dual_fmac_f32 v133, -0.5, v5
	s_delay_alu instid0(VALU_DEP_2) | instskip(NEXT) | instid1(VALU_DEP_4)
	v_lshlrev_b32_e32 v18, 3, v4
	v_fmamk_f32 v4, v11, 0x3f5db3d7, v132
	s_delay_alu instid0(VALU_DEP_3) | instskip(SKIP_1) | instid1(VALU_DEP_4)
	v_dual_fmac_f32 v132, 0xbf5db3d7, v11 :: v_dual_fmamk_f32 v5, v10, 0xbf5db3d7, v133
	v_fmac_f32_e32 v133, 0x3f5db3d7, v10
	v_add_nc_u32_e32 v19, 0xb600, v18
	s_clause 0x1
	scratch_store_b32 off, v18, off offset:664
	scratch_store_b32 off, v19, off offset:668
	ds_store_2addr_b64 v19, v[0:1], v[4:5] offset0:8 offset1:251
	ds_store_b64 v17, v[192:193] offset:44712
	ds_store_b64 v18, v[132:133] offset:50544
	;; [unrolled: 1-line block ×5, first 2 shown]
	global_wb scope:SCOPE_SE
	s_wait_storecnt_dscnt 0x0
	s_barrier_signal -1
	s_barrier_wait -1
	global_inv scope:SCOPE_SE
	s_clause 0x1
	global_load_b128 v[132:135], v219, s[10:11] offset:5808
	global_load_b128 v[136:139], v66, s[10:11] offset:5808
	ds_load_2addr_b64 v[188:191], v60 offset0:6 offset1:249
	s_wait_loadcnt_dscnt 0x100
	v_mul_f32_e32 v0, v189, v135
	s_wait_loadcnt 0x0
	v_mul_f32_e32 v25, v190, v139
	v_mul_f32_e32 v3, v188, v135
	s_delay_alu instid0(VALU_DEP_3) | instskip(SKIP_1) | instid1(VALU_DEP_4)
	v_fma_f32 v2, v188, v134, -v0
	v_mul_f32_e32 v0, v191, v139
	v_fmac_f32_e32 v25, v191, v138
	s_delay_alu instid0(VALU_DEP_4) | instskip(NEXT) | instid1(VALU_DEP_3)
	v_fmac_f32_e32 v3, v189, v134
	v_fma_f32 v24, v190, v138, -v0
	v_mul_u32_u24_e32 v0, 0x6799, v162
	ds_load_2addr_b64 v[190:193], v235 offset0:6 offset1:249
	v_lshrrev_b32_e32 v0, 16, v0
	s_delay_alu instid0(VALU_DEP_1) | instskip(NEXT) | instid1(VALU_DEP_1)
	v_sub_nc_u16 v1, v212, v0
	v_lshrrev_b16 v1, 1, v1
	s_delay_alu instid0(VALU_DEP_1) | instskip(SKIP_3) | instid1(VALU_DEP_3)
	v_add_nc_u16 v0, v1, v0
	s_wait_dscnt 0x0
	v_mul_f32_e32 v4, v191, v137
	v_mul_f32_e32 v27, v190, v137
	v_lshrrev_b16 v0, 9, v0
	s_delay_alu instid0(VALU_DEP_3) | instskip(NEXT) | instid1(VALU_DEP_3)
	v_fma_f32 v26, v190, v136, -v4
	v_fmac_f32_e32 v27, v191, v136
	s_delay_alu instid0(VALU_DEP_3) | instskip(NEXT) | instid1(VALU_DEP_1)
	v_mul_lo_u16 v0, 0x2d9, v0
	v_sub_nc_u16 v67, v212, v0
	s_delay_alu instid0(VALU_DEP_1) | instskip(NEXT) | instid1(VALU_DEP_1)
	v_lshlrev_b16 v0, 4, v67
	v_and_b32_e32 v0, 0xffff, v0
	s_delay_alu instid0(VALU_DEP_1)
	v_add_co_u32 v0, s12, s10, v0
	s_wait_alu 0xf1ff
	v_add_co_ci_u32_e64 v1, null, s11, 0, s12
	s_clause 0x1
	global_load_b128 v[196:199], v[0:1], off offset:5808
	global_load_b128 v[188:191], v204, s[10:11] offset:5808
	ds_load_2addr_b64 v[200:203], v63 offset0:12 offset1:255
	s_wait_dscnt 0x0
	v_mul_f32_e32 v33, v202, v135
	s_wait_loadcnt 0x0
	s_delay_alu instid0(VALU_DEP_1) | instskip(SKIP_2) | instid1(VALU_DEP_3)
	v_dual_fmac_f32 v33, v203, v134 :: v_dual_mul_f32 v0, v193, v189
	v_mul_f32_e32 v31, v200, v191
	v_mul_f32_e32 v29, v192, v189
	v_fma_f32 v28, v192, v188, -v0
	v_mul_f32_e32 v0, v201, v191
	s_delay_alu instid0(VALU_DEP_4) | instskip(NEXT) | instid1(VALU_DEP_4)
	v_fmac_f32_e32 v31, v201, v190
	v_fmac_f32_e32 v29, v193, v188
	s_delay_alu instid0(VALU_DEP_3) | instskip(SKIP_1) | instid1(VALU_DEP_1)
	v_fma_f32 v30, v200, v190, -v0
	v_mul_f32_e32 v0, v203, v135
	v_fma_f32 v32, v202, v134, -v0
	v_mul_u32_u24_e32 v0, 0x6799, v161
	ds_load_2addr_b64 v[160:163], v58 offset0:8 offset1:251
	ds_load_2addr_b64 v[200:203], v64 offset1:243
	v_lshrrev_b32_e32 v0, 16, v0
	s_delay_alu instid0(VALU_DEP_1) | instskip(NEXT) | instid1(VALU_DEP_1)
	v_sub_nc_u16 v1, v213, v0
	v_lshrrev_b16 v1, 1, v1
	s_delay_alu instid0(VALU_DEP_1) | instskip(SKIP_3) | instid1(VALU_DEP_3)
	v_add_nc_u16 v0, v1, v0
	s_wait_dscnt 0x1
	v_mul_f32_e32 v4, v162, v133
	v_mul_f32_e32 v1, v163, v133
	v_lshrrev_b16 v0, 9, v0
	s_delay_alu instid0(VALU_DEP_3) | instskip(NEXT) | instid1(VALU_DEP_3)
	v_fmac_f32_e32 v4, v163, v132
	v_fma_f32 v1, v162, v132, -v1
	s_delay_alu instid0(VALU_DEP_3) | instskip(SKIP_1) | instid1(VALU_DEP_3)
	v_mul_lo_u16 v0, 0x2d9, v0
	s_wait_dscnt 0x0
	v_dual_add_f32 v5, v201, v4 :: v_dual_sub_f32 v6, v4, v3
	v_add_f32_e32 v4, v4, v3
	s_delay_alu instid0(VALU_DEP_3) | instskip(NEXT) | instid1(VALU_DEP_3)
	v_sub_nc_u16 v34, v213, v0
	v_add_f32_e32 v17, v5, v3
	v_add_f32_e32 v3, v200, v1
	s_delay_alu instid0(VALU_DEP_4) | instskip(NEXT) | instid1(VALU_DEP_4)
	v_fma_f32 v19, -0.5, v4, v201
	v_lshlrev_b16 v0, 4, v34
	s_delay_alu instid0(VALU_DEP_3) | instskip(SKIP_4) | instid1(VALU_DEP_4)
	v_add_f32_e32 v16, v3, v2
	v_add_f32_e32 v3, v1, v2
	v_sub_f32_e32 v1, v1, v2
	v_mul_u32_u24_e32 v2, 0x6799, v233
	v_and_b32_e32 v0, 0xffff, v0
	v_fma_f32 v18, -0.5, v3, v200
	s_delay_alu instid0(VALU_DEP_4) | instskip(NEXT) | instid1(VALU_DEP_4)
	v_fmamk_f32 v21, v1, 0xbf5db3d7, v19
	v_lshrrev_b32_e32 v2, 16, v2
	v_fmac_f32_e32 v19, 0x3f5db3d7, v1
	v_add_co_u32 v0, s12, s10, v0
	v_fmamk_f32 v20, v6, 0x3f5db3d7, v18
	s_delay_alu instid0(VALU_DEP_4) | instskip(SKIP_1) | instid1(VALU_DEP_2)
	v_sub_nc_u16 v3, v220, v2
	v_fmac_f32_e32 v18, 0xbf5db3d7, v6
	v_lshrrev_b16 v3, 1, v3
	s_delay_alu instid0(VALU_DEP_1) | instskip(NEXT) | instid1(VALU_DEP_1)
	v_add_nc_u16 v2, v3, v2
	v_lshrrev_b16 v1, 9, v2
	s_delay_alu instid0(VALU_DEP_1) | instskip(NEXT) | instid1(VALU_DEP_1)
	v_mul_lo_u16 v1, 0x2d9, v1
	v_sub_nc_u16 v35, v220, v1
	s_delay_alu instid0(VALU_DEP_1) | instskip(NEXT) | instid1(VALU_DEP_1)
	v_lshlrev_b16 v1, 4, v35
	v_and_b32_e32 v2, 0xffff, v1
	s_wait_alu 0xf1ff
	v_add_co_ci_u32_e64 v1, null, s11, 0, s12
	s_delay_alu instid0(VALU_DEP_2)
	v_add_co_u32 v2, s12, s10, v2
	s_wait_alu 0xf1ff
	v_add_co_ci_u32_e64 v3, null, s11, 0, s12
	s_clause 0x1
	global_load_b128 v[224:227], v[0:1], off offset:5808
	global_load_b128 v[228:231], v[2:3], off offset:5808
	ds_load_b64 v[22:23], v64 offset:50544
	ds_load_2addr_b64 v[214:217], v49 offset0:6 offset1:249
	ds_load_2addr_b64 v[232:235], v68 offset0:4 offset1:247
	;; [unrolled: 1-line block ×7, first 2 shown]
	ds_load_2addr_b64 v[8:11], v57 offset1:243
	global_wb scope:SCOPE_SE
	s_wait_loadcnt_dscnt 0x0
	s_barrier_signal -1
	s_barrier_wait -1
	global_inv scope:SCOPE_SE
	ds_store_b64 v64, v[20:21] offset:5832
	ds_store_b64 v64, v[18:19] offset:11664
	v_dual_add_f32 v18, v202, v26 :: v_dual_add_f32 v19, v203, v27
	s_delay_alu instid0(VALU_DEP_1)
	v_dual_add_f32 v18, v18, v24 :: v_dual_add_f32 v19, v19, v25
	ds_store_2addr_b64 v64, v[16:17], v[18:19] offset1:243
	v_add_f32_e32 v16, v27, v25
	v_dual_add_f32 v18, v26, v24 :: v_dual_sub_f32 v17, v27, v25
	v_add_f32_e32 v19, v215, v29
	v_sub_f32_e32 v25, v28, v30
	s_delay_alu instid0(VALU_DEP_4) | instskip(NEXT) | instid1(VALU_DEP_4)
	v_fmac_f32_e32 v203, -0.5, v16
	v_fma_f32 v202, -0.5, v18, v202
	s_delay_alu instid0(VALU_DEP_4) | instskip(SKIP_1) | instid1(VALU_DEP_3)
	v_dual_sub_f32 v18, v26, v24 :: v_dual_add_f32 v19, v19, v31
	v_sub_f32_e32 v24, v29, v31
	v_dual_mul_f32 v27, v3, v191 :: v_dual_fmamk_f32 v16, v17, 0x3f5db3d7, v202
	s_delay_alu instid0(VALU_DEP_3) | instskip(SKIP_1) | instid1(VALU_DEP_3)
	v_dual_fmac_f32 v202, 0xbf5db3d7, v17 :: v_dual_fmamk_f32 v17, v18, 0xbf5db3d7, v203
	v_dual_fmac_f32 v203, 0x3f5db3d7, v18 :: v_dual_add_f32 v18, v214, v28
	v_fma_f32 v27, v2, v190, -v27
	v_mul_f32_e32 v37, v0, v139
	s_delay_alu instid0(VALU_DEP_3)
	v_dual_mul_f32 v39, v192, v199 :: v_dual_add_f32 v18, v18, v30
	ds_store_b64 v64, v[202:203] offset:13608
	ds_store_b64 v64, v[18:19] offset:3888
	v_dual_add_f32 v19, v29, v31 :: v_dual_add_f32 v18, v28, v30
	v_mul_f32_e32 v31, v234, v137
	v_fmac_f32_e32 v37, v1, v138
	v_fmac_f32_e32 v39, v193, v198
	s_delay_alu instid0(VALU_DEP_4) | instskip(SKIP_2) | instid1(VALU_DEP_3)
	v_fma_f32 v19, -0.5, v19, v215
	v_fma_f32 v18, -0.5, v18, v214
	v_fmac_f32_e32 v31, v235, v136
	v_fmamk_f32 v21, v25, 0xbf5db3d7, v19
	s_delay_alu instid0(VALU_DEP_3) | instskip(SKIP_4) | instid1(VALU_DEP_1)
	v_fmamk_f32 v20, v24, 0x3f5db3d7, v18
	v_fmac_f32_e32 v18, 0xbf5db3d7, v24
	v_fmac_f32_e32 v19, 0x3f5db3d7, v25
	ds_store_2addr_b64 v65, v[16:17], v[20:21] offset0:12 offset1:255
	v_dual_mul_f32 v16, v233, v133 :: v_dual_add_nc_u32 v65, 0xbd80, v64
	v_fma_f32 v16, v232, v132, -v16
	s_delay_alu instid0(VALU_DEP_1) | instskip(SKIP_1) | instid1(VALU_DEP_2)
	v_add_f32_e32 v17, v16, v32
	v_add_f32_e32 v20, v216, v16
	v_fma_f32 v216, -0.5, v17, v216
	v_mul_f32_e32 v17, v232, v133
	s_delay_alu instid0(VALU_DEP_1) | instskip(NEXT) | instid1(VALU_DEP_1)
	v_fmac_f32_e32 v17, v233, v132
	v_add_f32_e32 v21, v17, v33
	v_add_f32_e32 v26, v217, v17
	s_delay_alu instid0(VALU_DEP_2) | instskip(SKIP_1) | instid1(VALU_DEP_1)
	v_fmac_f32_e32 v217, -0.5, v21
	v_mul_f32_e32 v21, v5, v189
	v_fma_f32 v21, v4, v188, -v21
	v_mul_f32_e32 v4, v4, v189
	s_delay_alu instid0(VALU_DEP_2) | instskip(SKIP_1) | instid1(VALU_DEP_3)
	v_add_f32_e32 v28, v21, v27
	v_add_f32_e32 v29, v209, v21
	v_fmac_f32_e32 v4, v5, v188
	v_sub_f32_e32 v5, v16, v32
	s_delay_alu instid0(VALU_DEP_4) | instskip(SKIP_1) | instid1(VALU_DEP_4)
	v_fma_f32 v209, -0.5, v28, v209
	v_mul_f32_e32 v28, v2, v191
	v_add_f32_e32 v30, v210, v4
	s_delay_alu instid0(VALU_DEP_2) | instskip(NEXT) | instid1(VALU_DEP_1)
	v_dual_fmac_f32 v28, v3, v190 :: v_dual_sub_f32 v3, v17, v33
	v_dual_sub_f32 v17, v21, v27 :: v_dual_add_f32 v2, v4, v28
	v_sub_f32_e32 v16, v4, v28
	s_delay_alu instid0(VALU_DEP_2) | instskip(NEXT) | instid1(VALU_DEP_4)
	v_fmac_f32_e32 v210, -0.5, v2
	v_fmamk_f32 v2, v3, 0x3f5db3d7, v216
	v_dual_fmac_f32 v216, 0xbf5db3d7, v3 :: v_dual_fmamk_f32 v3, v5, 0xbf5db3d7, v217
	v_fmac_f32_e32 v217, 0x3f5db3d7, v5
	v_fmamk_f32 v4, v16, 0x3f5db3d7, v209
	v_fmamk_f32 v5, v17, 0xbf5db3d7, v210
	v_fmac_f32_e32 v209, 0xbf5db3d7, v16
	v_fmac_f32_e32 v210, 0x3f5db3d7, v17
	v_add_f32_e32 v16, v208, v31
	ds_store_2addr_b64 v55, v[4:5], v[216:217] offset0:10 offset1:253
	v_mul_f32_e32 v4, v235, v137
	v_sub_f32_e32 v5, v31, v37
	s_delay_alu instid0(VALU_DEP_2) | instskip(SKIP_1) | instid1(VALU_DEP_1)
	v_fma_f32 v21, v234, v136, -v4
	v_dual_mul_f32 v4, v1, v139 :: v_dual_add_f32 v1, v31, v37
	v_fma_f32 v36, v0, v138, -v4
	v_mul_f32_e32 v0, v7, v197
	s_delay_alu instid0(VALU_DEP_3) | instskip(NEXT) | instid1(VALU_DEP_2)
	v_fma_f32 v1, -0.5, v1, v208
	v_fma_f32 v38, v6, v196, -v0
	v_mul_f32_e32 v6, v6, v197
	v_mul_f32_e32 v0, v193, v199
	s_delay_alu instid0(VALU_DEP_2) | instskip(NEXT) | instid1(VALU_DEP_2)
	v_fmac_f32_e32 v6, v7, v196
	v_fma_f32 v7, v192, v198, -v0
	v_mul_f32_e32 v0, v195, v227
	v_mul_f32_e32 v41, v194, v227
	s_delay_alu instid0(VALU_DEP_2) | instskip(NEXT) | instid1(VALU_DEP_2)
	v_fma_f32 v40, v194, v226, -v0
	v_dual_mul_f32 v0, v9, v225 :: v_dual_fmac_f32 v41, v195, v226
	s_delay_alu instid0(VALU_DEP_1) | instskip(SKIP_2) | instid1(VALU_DEP_2)
	v_fma_f32 v42, v8, v224, -v0
	v_mul_f32_e32 v8, v8, v225
	v_mul_f32_e32 v0, v11, v229
	v_fmac_f32_e32 v8, v9, v224
	s_delay_alu instid0(VALU_DEP_2) | instskip(SKIP_2) | instid1(VALU_DEP_2)
	v_fma_f32 v9, v10, v228, -v0
	v_mul_f32_e32 v10, v10, v229
	v_add_f32_e32 v0, v21, v36
	v_fmac_f32_e32 v10, v11, v228
	s_delay_alu instid0(VALU_DEP_2) | instskip(SKIP_1) | instid1(VALU_DEP_2)
	v_fma_f32 v0, -0.5, v0, v207
	v_sub_f32_e32 v11, v21, v36
	v_fmamk_f32 v4, v5, 0x3f5db3d7, v0
	s_delay_alu instid0(VALU_DEP_2)
	v_dual_fmac_f32 v0, 0xbf5db3d7, v5 :: v_dual_fmamk_f32 v5, v11, 0xbf5db3d7, v1
	v_fmac_f32_e32 v1, 0x3f5db3d7, v11
	v_add_f32_e32 v11, v207, v21
	ds_store_2addr_b64 v57, v[0:1], v[209:210] offset1:243
	v_dual_add_f32 v0, v20, v32 :: v_dual_add_f32 v1, v26, v33
	ds_store_2addr_b64 v58, v[18:19], v[0:1] offset0:8 offset1:251
	ds_store_2addr_b64 v68, v[2:3], v[4:5] offset0:4 offset1:247
	v_dual_add_f32 v0, v11, v36 :: v_dual_add_f32 v1, v16, v37
	v_dual_add_f32 v2, v29, v27 :: v_dual_add_f32 v3, v30, v28
	v_and_b32_e32 v4, 0xffff, v67
	v_mul_f32_e32 v16, v22, v231
	ds_store_2addr_b64 v56, v[0:1], v[2:3] offset0:6 offset1:249
	v_mul_f32_e32 v0, v23, v231
	v_add_f32_e32 v3, v6, v39
	v_add_f32_e32 v2, v38, v7
	v_fmac_f32_e32 v16, v23, v230
	s_delay_alu instid0(VALU_DEP_4)
	v_fma_f32 v11, v22, v230, -v0
	v_add_f32_e32 v0, v13, v6
	v_fma_f32 v3, -0.5, v3, v13
	v_lshlrev_b32_e32 v13, 3, v4
	v_fma_f32 v2, -0.5, v2, v12
	v_sub_f32_e32 v6, v6, v39
	v_add_f32_e32 v1, v0, v39
	v_add_f32_e32 v0, v12, v38
	v_and_b32_e32 v12, 0xffff, v34
	scratch_store_b32 off, v13, off offset:676 ; 4-byte Folded Spill
	v_fmamk_f32 v4, v6, 0x3f5db3d7, v2
	v_fmac_f32_e32 v2, 0xbf5db3d7, v6
	v_add_f32_e32 v0, v0, v7
	v_dual_sub_f32 v7, v38, v7 :: v_dual_lshlrev_b32 v12, 3, v12
	v_add_f32_e32 v6, v9, v11
	ds_store_b64 v13, v[0:1] offset:34992
	v_dual_add_f32 v0, v14, v42 :: v_dual_add_f32 v1, v15, v8
	v_fmamk_f32 v5, v7, 0xbf5db3d7, v3
	s_delay_alu instid0(VALU_DEP_2) | instskip(NEXT) | instid1(VALU_DEP_3)
	v_dual_fmac_f32 v3, 0x3f5db3d7, v7 :: v_dual_add_f32 v0, v0, v40
	v_add_f32_e32 v1, v1, v41
	ds_store_b64 v12, v[0:1] offset:34992
	v_dual_add_f32 v0, v8, v41 :: v_dual_add_f32 v1, v42, v40
	ds_store_b64 v13, v[2:3] offset:46656
	ds_store_b64 v13, v[4:5] offset:40824
	v_dual_sub_f32 v3, v8, v41 :: v_dual_sub_f32 v4, v42, v40
	v_fmac_f32_e32 v15, -0.5, v0
	v_fma_f32 v14, -0.5, v1, v14
	v_dual_add_f32 v0, v160, v9 :: v_dual_add_f32 v1, v161, v10
	v_sub_f32_e32 v5, v10, v16
	v_fma_f32 v160, -0.5, v6, v160
	s_delay_alu instid0(VALU_DEP_4)
	v_fmamk_f32 v2, v3, 0x3f5db3d7, v14
	v_dual_fmac_f32 v14, 0xbf5db3d7, v3 :: v_dual_fmamk_f32 v3, v4, 0xbf5db3d7, v15
	v_fmac_f32_e32 v15, 0x3f5db3d7, v4
	v_and_b32_e32 v4, 0xffff, v35
	v_sub_f32_e32 v6, v9, v11
	v_dual_add_f32 v0, v0, v11 :: v_dual_add_f32 v1, v1, v16
	ds_store_b64 v12, v[14:15] offset:46656
	v_lshlrev_b32_e32 v7, 3, v4
	v_add_f32_e32 v4, v10, v16
	scratch_store_b32 off, v12, off offset:680 ; 4-byte Folded Spill
	v_mov_b32_e32 v74, v60
	v_mov_b32_e32 v60, v71
	scratch_store_b32 off, v7, off offset:672 ; 4-byte Folded Spill
	v_dual_fmac_f32 v161, -0.5, v4 :: v_dual_fmamk_f32 v4, v5, 0x3f5db3d7, v160
	s_delay_alu instid0(VALU_DEP_1)
	v_dual_fmac_f32 v160, 0xbf5db3d7, v5 :: v_dual_fmamk_f32 v5, v6, 0xbf5db3d7, v161
	v_fmac_f32_e32 v161, 0x3f5db3d7, v6
	ds_store_b64 v7, v[160:161] offset:46656
	ds_store_b64 v12, v[2:3] offset:40824
	;; [unrolled: 1-line block ×4, first 2 shown]
	global_wb scope:SCOPE_SE
	s_wait_storecnt_dscnt 0x0
	s_barrier_signal -1
	s_barrier_wait -1
	global_inv scope:SCOPE_SE
	s_clause 0x1
	global_load_b128 v[200:203], v219, s[10:11] offset:17472
	global_load_b128 v[192:195], v66, s[10:11] offset:17472
	ds_load_2addr_b64 v[0:3], v74 offset0:6 offset1:249
	v_mov_b32_e32 v66, v55
	s_wait_loadcnt_dscnt 0x100
	v_mul_f32_e32 v4, v1, v203
	v_mul_f32_e32 v7, v0, v203
	s_wait_loadcnt 0x0
	v_mul_f32_e32 v43, v2, v195
	s_delay_alu instid0(VALU_DEP_3) | instskip(SKIP_4) | instid1(VALU_DEP_4)
	v_fma_f32 v6, v0, v202, -v4
	v_mul_f32_e32 v0, v3, v195
	v_lshlrev_b32_e32 v4, 4, v206
	v_fmac_f32_e32 v7, v1, v202
	v_fmac_f32_e32 v43, v3, v194
	v_fma_f32 v42, v2, v194, -v0
	ds_load_2addr_b64 v[0:3], v56 offset0:6 offset1:249
	s_clause 0x1
	global_load_b128 v[232:235], v204, s[10:11] offset:17472
	global_load_b128 v[160:163], v4, s[10:11] offset:17472
	ds_load_2addr_b64 v[14:17], v58 offset0:8 offset1:251
	s_wait_dscnt 0x1
	v_mul_f32_e32 v5, v1, v193
	v_mul_f32_e32 v45, v0, v193
	s_delay_alu instid0(VALU_DEP_2) | instskip(NEXT) | instid1(VALU_DEP_2)
	v_fma_f32 v44, v0, v192, -v5
	v_fmac_f32_e32 v45, v1, v192
	s_wait_dscnt 0x0
	v_mul_f32_e32 v1, v16, v201
	s_delay_alu instid0(VALU_DEP_1) | instskip(SKIP_1) | instid1(VALU_DEP_1)
	v_fmac_f32_e32 v1, v17, v200
	s_wait_loadcnt 0x1
	v_dual_sub_f32 v9, v1, v7 :: v_dual_mul_f32 v0, v3, v233
	v_mul_f32_e32 v47, v2, v233
	s_delay_alu instid0(VALU_DEP_2) | instskip(NEXT) | instid1(VALU_DEP_2)
	v_fma_f32 v46, v2, v232, -v0
	v_fmac_f32_e32 v47, v3, v232
	ds_load_2addr_b64 v[2:5], v64 offset1:243
	v_mul_f32_e32 v0, v17, v201
	s_delay_alu instid0(VALU_DEP_1) | instskip(SKIP_2) | instid1(VALU_DEP_1)
	v_fma_f32 v0, v16, v200, -v0
	s_wait_dscnt 0x0
	v_dual_add_f32 v8, v3, v1 :: v_dual_add_f32 v1, v1, v7
	v_add_f32_e32 v37, v8, v7
	s_delay_alu instid0(VALU_DEP_3) | instskip(NEXT) | instid1(VALU_DEP_3)
	v_add_f32_e32 v7, v2, v0
	v_fma_f32 v1, -0.5, v1, v3
	s_delay_alu instid0(VALU_DEP_2) | instskip(SKIP_2) | instid1(VALU_DEP_2)
	v_add_f32_e32 v36, v7, v6
	v_add_f32_e32 v7, v0, v6
	v_sub_f32_e32 v6, v0, v6
	v_fma_f32 v0, -0.5, v7, v2
	s_delay_alu instid0(VALU_DEP_2) | instskip(NEXT) | instid1(VALU_DEP_2)
	v_fmamk_f32 v3, v6, 0xbf5db3d7, v1
	v_dual_fmac_f32 v1, 0x3f5db3d7, v6 :: v_dual_fmamk_f32 v2, v9, 0x3f5db3d7, v0
	v_fmac_f32_e32 v0, 0xbf5db3d7, v9
	ds_store_b64 v64, v[2:3] offset:17496
	ds_store_b64 v64, v[0:1] offset:34992
	ds_load_b64 v[40:41], v64 offset:50544
	ds_load_2addr_b64 v[6:9], v63 offset0:12 offset1:255
	v_dual_add_f32 v0, v4, v44 :: v_dual_add_f32 v1, v5, v45
	ds_load_2addr_b64 v[10:13], v49 offset0:6 offset1:249
	ds_load_2addr_b64 v[214:217], v68 offset0:4 offset1:247
	v_dual_add_f32 v38, v0, v42 :: v_dual_add_f32 v39, v1, v43
	ds_load_2addr_b64 v[0:3], v50 offset0:12 offset1:255
	ds_load_2addr_b64 v[16:19], v62 offset0:2 offset1:245
	;; [unrolled: 1-line block ×5, first 2 shown]
	ds_load_2addr_b64 v[32:35], v57 offset1:243
	v_add_nc_u32_e32 v71, 0xae80, v64
	ds_store_2addr_b64 v64, v[36:37], v[38:39] offset1:243
	v_add_f32_e32 v36, v45, v43
	v_dual_sub_f32 v37, v45, v43 :: v_dual_add_f32 v38, v44, v42
	v_sub_f32_e32 v39, v44, v42
	s_wait_dscnt 0x9
	s_delay_alu instid0(VALU_DEP_3)
	v_dual_fmac_f32 v5, -0.5, v36 :: v_dual_mul_f32 v36, v7, v235
	v_mul_f32_e32 v43, v6, v235
	v_fma_f32 v4, -0.5, v38, v4
	s_wait_loadcnt 0x0
	v_mul_f32_e32 v45, v8, v163
	v_fma_f32 v42, v6, v234, -v36
	s_delay_alu instid0(VALU_DEP_3) | instskip(SKIP_1) | instid1(VALU_DEP_2)
	v_dual_fmac_f32 v43, v7, v234 :: v_dual_fmamk_f32 v36, v37, 0x3f5db3d7, v4
	v_dual_fmac_f32 v4, 0xbf5db3d7, v37 :: v_dual_fmamk_f32 v37, v39, 0xbf5db3d7, v5
	v_dual_add_f32 v6, v46, v42 :: v_dual_add_f32 v7, v47, v43
	v_fmac_f32_e32 v5, 0x3f5db3d7, v39
	v_dual_sub_f32 v39, v47, v43 :: v_dual_sub_f32 v44, v46, v42
	s_wait_dscnt 0x8
	s_delay_alu instid0(VALU_DEP_3) | instskip(SKIP_3) | instid1(VALU_DEP_4)
	v_fma_f32 v6, -0.5, v6, v10
	v_fma_f32 v7, -0.5, v7, v11
	v_fmac_f32_e32 v45, v9, v162
	v_dual_add_f32 v47, v11, v47 :: v_dual_add_f32 v46, v10, v46
	v_fmamk_f32 v38, v39, 0x3f5db3d7, v6
	s_delay_alu instid0(VALU_DEP_4)
	v_dual_fmac_f32 v6, 0xbf5db3d7, v39 :: v_dual_fmamk_f32 v39, v44, 0xbf5db3d7, v7
	v_fmac_f32_e32 v7, 0x3f5db3d7, v44
	v_add_nc_u32_e32 v44, 0x9000, v64
	ds_store_2addr_b64 v44, v[4:5], v[6:7] offset0:9 offset1:252
	v_dual_mul_f32 v4, v9, v163 :: v_dual_lshlrev_b32 v5, 4, v218
	s_wait_dscnt 0x8
	v_mul_f32_e32 v6, v215, v161
	s_delay_alu instid0(VALU_DEP_2)
	v_fma_f32 v44, v8, v162, -v4
	v_lshlrev_b32_e32 v4, 4, v211
	s_clause 0x1
	global_load_b128 v[208:211], v4, s[10:11] offset:17472
	global_load_b128 v[204:207], v5, s[10:11] offset:17472
	v_fma_f32 v7, v214, v160, -v6
	v_mul_f32_e32 v6, v214, v161
	s_delay_alu instid0(VALU_DEP_1) | instskip(NEXT) | instid1(VALU_DEP_1)
	v_dual_fmac_f32 v6, v215, v160 :: v_dual_lshlrev_b32 v5, 4, v213
	v_add_f32_e32 v51, v13, v6
	s_wait_loadcnt 0x1
	v_mul_f32_e32 v4, v217, v209
	v_mul_f32_e32 v49, v216, v209
	s_wait_loadcnt_dscnt 0x5
	v_mul_f32_e32 v8, v21, v205
	s_delay_alu instid0(VALU_DEP_3) | instskip(SKIP_2) | instid1(VALU_DEP_2)
	v_fma_f32 v48, v216, v208, -v4
	v_mul_f32_e32 v4, v17, v211
	v_fmac_f32_e32 v49, v217, v208
	v_fma_f32 v50, v16, v210, -v4
	v_mul_f32_e32 v16, v16, v211
	v_mul_f32_e32 v4, v19, v207
	s_delay_alu instid0(VALU_DEP_3) | instskip(NEXT) | instid1(VALU_DEP_3)
	v_sub_f32_e32 v52, v48, v50
	v_fmac_f32_e32 v16, v17, v210
	s_delay_alu instid0(VALU_DEP_3)
	v_fma_f32 v17, v18, v206, -v4
	v_lshlrev_b32_e32 v4, 4, v212
	s_clause 0x1
	global_load_b128 v[216:219], v4, s[10:11] offset:17472
	global_load_b128 v[212:215], v5, s[10:11] offset:17472
	v_dual_mul_f32 v18, v18, v207 :: v_dual_sub_f32 v9, v49, v16
	ds_store_2addr_b64 v56, v[36:37], v[38:39] offset0:6 offset1:249
	v_fmac_f32_e32 v18, v19, v206
	v_fma_f32 v19, v20, v204, -v8
	v_mul_f32_e32 v20, v20, v205
	v_sub_f32_e32 v8, v6, v45
	s_delay_alu instid0(VALU_DEP_2) | instskip(NEXT) | instid1(VALU_DEP_1)
	v_fmac_f32_e32 v20, v21, v204
	v_add_f32_e32 v53, v3, v20
	s_wait_loadcnt 0x1
	v_dual_sub_f32 v11, v20, v18 :: v_dual_mul_f32 v4, v23, v217
	s_wait_loadcnt_dscnt 0x3
	v_mul_f32_e32 v5, v33, v213
	s_delay_alu instid0(VALU_DEP_2) | instskip(SKIP_2) | instid1(VALU_DEP_2)
	v_fma_f32 v21, v22, v216, -v4
	v_mul_f32_e32 v22, v22, v217
	v_mul_f32_e32 v4, v25, v219
	v_fmac_f32_e32 v22, v23, v216
	s_delay_alu instid0(VALU_DEP_2) | instskip(SKIP_2) | instid1(VALU_DEP_2)
	v_fma_f32 v23, v24, v218, -v4
	v_mul_f32_e32 v24, v24, v219
	v_mul_f32_e32 v4, v27, v215
	v_fmac_f32_e32 v24, v25, v218
	s_delay_alu instid0(VALU_DEP_2)
	v_fma_f32 v25, v26, v214, -v4
	v_lshlrev_b32_e32 v4, 4, v220
	v_mul_f32_e32 v26, v26, v215
	global_load_b128 v[220:223], v4, s[10:11] offset:17472
	v_fmac_f32_e32 v26, v27, v214
	v_fma_f32 v27, v32, v212, -v5
	v_dual_mul_f32 v32, v32, v213 :: v_dual_add_f32 v5, v49, v16
	s_add_nc_u64 s[10:11], s[8:9], 0xcd08
	s_delay_alu instid0(VALU_DEP_1) | instskip(NEXT) | instid1(VALU_DEP_2)
	v_fmac_f32_e32 v32, v33, v212
	v_fma_f32 v5, -0.5, v5, v1
	s_wait_loadcnt 0x0
	v_mul_f32_e32 v4, v35, v221
	s_delay_alu instid0(VALU_DEP_1) | instskip(SKIP_2) | instid1(VALU_DEP_3)
	v_fma_f32 v33, v34, v220, -v4
	v_mul_f32_e32 v34, v34, v221
	v_add_f32_e32 v4, v7, v44
	v_add_f32_e32 v54, v14, v33
	s_delay_alu instid0(VALU_DEP_3) | instskip(NEXT) | instid1(VALU_DEP_3)
	v_dual_fmac_f32 v34, v35, v220 :: v_dual_add_f32 v35, v12, v7
	v_fma_f32 v12, -0.5, v4, v12
	s_delay_alu instid0(VALU_DEP_2) | instskip(NEXT) | instid1(VALU_DEP_1)
	v_dual_add_f32 v4, v6, v45 :: v_dual_add_f32 v55, v15, v34
	v_dual_fmamk_f32 v6, v8, 0x3f5db3d7, v12 :: v_dual_fmac_f32 v13, -0.5, v4
	v_add_f32_e32 v4, v48, v50
	v_fmac_f32_e32 v12, 0xbf5db3d7, v8
	v_sub_f32_e32 v8, v7, v44
	s_delay_alu instid0(VALU_DEP_3) | instskip(NEXT) | instid1(VALU_DEP_2)
	v_fma_f32 v4, -0.5, v4, v0
	v_fmamk_f32 v7, v8, 0xbf5db3d7, v13
	s_delay_alu instid0(VALU_DEP_2)
	v_dual_fmac_f32 v13, 0x3f5db3d7, v8 :: v_dual_fmamk_f32 v8, v9, 0x3f5db3d7, v4
	v_dual_fmac_f32 v4, 0xbf5db3d7, v9 :: v_dual_fmamk_f32 v9, v52, 0xbf5db3d7, v5
	v_dual_fmac_f32 v5, 0x3f5db3d7, v52 :: v_dual_add_f32 v52, v2, v19
	ds_store_2addr_b64 v72, v[12:13], v[4:5] offset0:7 offset1:250
	v_dual_add_f32 v4, v19, v17 :: v_dual_add_f32 v5, v22, v24
	v_dual_sub_f32 v12, v19, v17 :: v_dual_sub_f32 v13, v22, v24
	v_sub_f32_e32 v19, v21, v23
	s_delay_alu instid0(VALU_DEP_3) | instskip(SKIP_3) | instid1(VALU_DEP_3)
	v_fma_f32 v2, -0.5, v4, v2
	v_add_f32_e32 v4, v20, v18
	v_fma_f32 v5, -0.5, v5, v29
	v_dual_add_f32 v20, v1, v49 :: v_dual_add_f32 v49, v31, v32
	v_dual_fmamk_f32 v10, v11, 0x3f5db3d7, v2 :: v_dual_fmac_f32 v3, -0.5, v4
	v_add_f32_e32 v4, v21, v23
	v_dual_fmac_f32 v2, 0xbf5db3d7, v11 :: v_dual_sub_f32 v1, v32, v26
	v_add_f32_e32 v21, v28, v21
	s_delay_alu instid0(VALU_DEP_4) | instskip(NEXT) | instid1(VALU_DEP_4)
	v_fmamk_f32 v11, v12, 0xbf5db3d7, v3
	v_fma_f32 v4, -0.5, v4, v28
	v_dual_fmac_f32 v3, 0x3f5db3d7, v12 :: v_dual_add_f32 v22, v29, v22
	s_delay_alu instid0(VALU_DEP_2)
	v_fmamk_f32 v12, v13, 0x3f5db3d7, v4
	v_dual_fmac_f32 v4, 0xbf5db3d7, v13 :: v_dual_fmamk_f32 v13, v19, 0xbf5db3d7, v5
	v_fmac_f32_e32 v5, 0x3f5db3d7, v19
	v_dual_add_f32 v19, v0, v48 :: v_dual_mul_f32 v0, v41, v223
	ds_store_2addr_b64 v71, v[2:3], v[4:5] offset0:5 offset1:248
	v_sub_f32_e32 v2, v27, v25
	v_fma_f32 v48, v40, v222, -v0
	v_mul_f32_e32 v40, v40, v223
	v_add_f32_e32 v0, v27, v25
	s_delay_alu instid0(VALU_DEP_3) | instskip(NEXT) | instid1(VALU_DEP_3)
	v_dual_add_f32 v5, v47, v43 :: v_dual_sub_f32 v4, v33, v48
	v_dual_fmac_f32 v40, v41, v222 :: v_dual_add_f32 v41, v30, v27
	s_delay_alu instid0(VALU_DEP_3) | instskip(SKIP_2) | instid1(VALU_DEP_4)
	v_fma_f32 v30, -0.5, v0, v30
	v_add_f32_e32 v0, v32, v26
	v_mov_b32_e32 v27, v56
	v_sub_f32_e32 v3, v34, v40
	s_delay_alu instid0(VALU_DEP_3) | instskip(SKIP_1) | instid1(VALU_DEP_1)
	v_fmac_f32_e32 v31, -0.5, v0
	v_add_f32_e32 v0, v33, v48
	v_fma_f32 v14, -0.5, v0, v14
	v_add_f32_e32 v0, v34, v40
	s_delay_alu instid0(VALU_DEP_1) | instskip(SKIP_1) | instid1(VALU_DEP_4)
	v_dual_fmac_f32 v15, -0.5, v0 :: v_dual_fmamk_f32 v0, v1, 0x3f5db3d7, v30
	v_dual_fmac_f32 v30, 0xbf5db3d7, v1 :: v_dual_fmamk_f32 v1, v2, 0xbf5db3d7, v31
	v_dual_fmac_f32 v31, 0x3f5db3d7, v2 :: v_dual_fmamk_f32 v2, v3, 0x3f5db3d7, v14
	s_delay_alu instid0(VALU_DEP_3)
	v_dual_fmac_f32 v14, 0xbf5db3d7, v3 :: v_dual_fmamk_f32 v3, v4, 0xbf5db3d7, v15
	v_dual_fmac_f32 v15, 0x3f5db3d7, v4 :: v_dual_add_f32 v4, v46, v42
	ds_store_2addr_b64 v65, v[30:31], v[14:15] offset0:11 offset1:254
	v_add_f32_e32 v14, v35, v44
	v_add_f32_e32 v15, v51, v45
	ds_store_2addr_b64 v61, v[4:5], v[14:15] offset0:6 offset1:249
	ds_store_2addr_b64 v68, v[6:7], v[8:9] offset0:4 offset1:247
	v_dual_add_f32 v4, v19, v50 :: v_dual_add_f32 v5, v20, v16
	v_dual_add_f32 v6, v52, v17 :: v_dual_add_f32 v7, v53, v18
	ds_store_2addr_b64 v57, v[0:1], v[2:3] offset1:243
	v_add_f32_e32 v0, v54, v48
	v_add_f32_e32 v1, v55, v40
	ds_store_2addr_b64 v66, v[10:11], v[12:13] offset0:10 offset1:253
	ds_store_2addr_b64 v70, v[4:5], v[6:7] offset0:12 offset1:255
	v_dual_add_f32 v4, v21, v23 :: v_dual_add_f32 v5, v22, v24
	v_add_f32_e32 v6, v41, v25
	v_add_f32_e32 v7, v49, v26
	v_mov_b32_e32 v70, v57
	ds_store_b64 v64, v[0:1] offset:15552
	v_mov_b32_e32 v50, v66
	ds_store_2addr_b64 v59, v[4:5], v[6:7] offset0:2 offset1:245
	global_wb scope:SCOPE_SE
	s_wait_dscnt 0x0
	s_barrier_signal -1
	s_barrier_wait -1
	global_inv scope:SCOPE_SE
	s_clause 0x1
	global_load_b64 v[4:5], v64, s[8:9] offset:52488
	global_load_b64 v[56:57], v64, s[10:11] offset:50544
	ds_load_2addr_b64 v[0:3], v64 offset1:243
	v_mov_b32_e32 v59, v74
	v_mov_b32_e32 v75, v50
	s_mov_b32 s8, 0xab547995
	s_mov_b32 s9, 0x3f23fa39
	s_wait_loadcnt_dscnt 0x100
	v_mul_f32_e32 v6, v1, v5
	v_mul_f32_e32 v9, v0, v5
	s_delay_alu instid0(VALU_DEP_2) | instskip(NEXT) | instid1(VALU_DEP_2)
	v_fma_f32 v8, v0, v4, -v6
	v_fmac_f32_e32 v9, v1, v4
	s_clause 0x2
	global_load_b64 v[0:1], v64, s[10:11] offset:1944
	global_load_b64 v[4:5], v64, s[10:11] offset:3888
	;; [unrolled: 1-line block ×3, first 2 shown]
	ds_load_b64 v[52:53], v64 offset:50544
	ds_store_b64 v64, v[8:9]
	s_clause 0x2
	global_load_b64 v[8:9], v64, s[10:11] offset:34992
	global_load_b64 v[16:17], v64, s[10:11] offset:36936
	global_load_b64 v[48:49], v64, s[10:11] offset:33048
	s_wait_loadcnt 0x5
	v_mul_f32_e32 v6, v3, v1
	v_mul_f32_e32 v15, v2, v1
	s_delay_alu instid0(VALU_DEP_2) | instskip(NEXT) | instid1(VALU_DEP_2)
	v_fma_f32 v14, v2, v0, -v6
	v_fmac_f32_e32 v15, v3, v0
	ds_load_2addr_b64 v[0:3], v74 offset0:6 offset1:249
	v_mov_b32_e32 v74, v27
	s_wait_loadcnt_dscnt 0x200
	v_mul_f32_e32 v6, v1, v9
	v_mul_f32_e32 v21, v0, v9
	s_wait_loadcnt 0x1
	v_mul_f32_e32 v19, v2, v17
	s_delay_alu instid0(VALU_DEP_3) | instskip(SKIP_1) | instid1(VALU_DEP_3)
	v_fma_f32 v20, v0, v8, -v6
	v_mul_f32_e32 v0, v3, v17
	v_fmac_f32_e32 v19, v3, v16
	v_fmac_f32_e32 v21, v1, v8
	s_delay_alu instid0(VALU_DEP_3)
	v_fma_f32 v18, v2, v16, -v0
	s_clause 0x2
	global_load_b64 v[16:17], v64, s[10:11] offset:19440
	global_load_b64 v[22:23], v64, s[10:11] offset:21384
	global_load_b64 v[24:25], v64, s[10:11] offset:17496
	ds_load_2addr_b64 v[0:3], v27 offset0:6 offset1:249
	s_wait_loadcnt_dscnt 0x200
	v_mul_f32_e32 v6, v1, v17
	v_mul_f32_e32 v27, v0, v17
	s_wait_loadcnt 0x1
	v_mul_f32_e32 v17, v2, v23
	s_delay_alu instid0(VALU_DEP_3) | instskip(NEXT) | instid1(VALU_DEP_3)
	v_fma_f32 v26, v0, v16, -v6
	v_dual_mul_f32 v0, v3, v23 :: v_dual_fmac_f32 v27, v1, v16
	s_delay_alu instid0(VALU_DEP_3) | instskip(NEXT) | instid1(VALU_DEP_2)
	v_fmac_f32_e32 v17, v3, v22
	v_fma_f32 v16, v2, v22, -v0
	ds_load_2addr_b64 v[0:3], v61 offset0:6 offset1:249
	s_wait_dscnt 0x0
	v_mul_f32_e32 v6, v1, v5
	v_mul_f32_e32 v23, v0, v5
	;; [unrolled: 1-line block ×3, first 2 shown]
	s_delay_alu instid0(VALU_DEP_3) | instskip(SKIP_1) | instid1(VALU_DEP_3)
	v_fma_f32 v22, v0, v4, -v6
	v_mul_f32_e32 v0, v3, v11
	v_fmac_f32_e32 v13, v3, v10
	v_fmac_f32_e32 v23, v1, v4
	s_delay_alu instid0(VALU_DEP_3)
	v_fma_f32 v12, v2, v10, -v0
	s_clause 0x3
	global_load_b64 v[10:11], v64, s[10:11] offset:38880
	global_load_b64 v[28:29], v64, s[10:11] offset:40824
	global_load_b64 v[30:31], v64, s[10:11] offset:42768
	global_load_b64 v[32:33], v64, s[10:11] offset:44712
	ds_load_2addr_b64 v[0:3], v63 offset0:12 offset1:255
	s_wait_loadcnt_dscnt 0x300
	v_mul_f32_e32 v4, v1, v11
	v_mul_f32_e32 v35, v0, v11
	s_wait_loadcnt 0x2
	v_mul_f32_e32 v11, v2, v29
	s_delay_alu instid0(VALU_DEP_3) | instskip(NEXT) | instid1(VALU_DEP_3)
	v_fma_f32 v34, v0, v10, -v4
	v_dual_mul_f32 v0, v3, v29 :: v_dual_fmac_f32 v35, v1, v10
	s_delay_alu instid0(VALU_DEP_3) | instskip(NEXT) | instid1(VALU_DEP_2)
	v_fmac_f32_e32 v11, v3, v28
	v_fma_f32 v10, v2, v28, -v0
	s_clause 0x3
	global_load_b64 v[28:29], v64, s[10:11] offset:23328
	global_load_b64 v[36:37], v64, s[10:11] offset:25272
	global_load_b64 v[38:39], v64, s[10:11] offset:27216
	global_load_b64 v[40:41], v64, s[10:11] offset:29160
	ds_load_2addr_b64 v[0:3], v68 offset0:4 offset1:247
	s_wait_loadcnt_dscnt 0x300
	v_mul_f32_e32 v4, v1, v29
	v_mul_f32_e32 v43, v0, v29
	s_wait_loadcnt 0x2
	v_mul_f32_e32 v29, v2, v37
	s_delay_alu instid0(VALU_DEP_3) | instskip(NEXT) | instid1(VALU_DEP_3)
	v_fma_f32 v42, v0, v28, -v4
	v_dual_mul_f32 v0, v3, v37 :: v_dual_fmac_f32 v43, v1, v28
	s_delay_alu instid0(VALU_DEP_3) | instskip(NEXT) | instid1(VALU_DEP_2)
	v_fmac_f32_e32 v29, v3, v36
	;; [unrolled: 17-line block ×3, first 2 shown]
	v_fma_f32 v36, v2, v44, -v0
	ds_load_2addr_b64 v[0:3], v62 offset0:2 offset1:245
	s_wait_dscnt 0x0
	v_mul_f32_e32 v4, v1, v31
	v_mul_f32_e32 v45, v0, v31
	;; [unrolled: 1-line block ×3, first 2 shown]
	s_delay_alu instid0(VALU_DEP_3) | instskip(NEXT) | instid1(VALU_DEP_3)
	v_fma_f32 v44, v0, v30, -v4
	v_dual_mul_f32 v0, v3, v33 :: v_dual_fmac_f32 v45, v1, v30
	s_delay_alu instid0(VALU_DEP_3) | instskip(NEXT) | instid1(VALU_DEP_2)
	v_fmac_f32_e32 v31, v3, v32
	v_fma_f32 v30, v2, v32, -v0
	ds_load_2addr_b64 v[0:3], v50 offset0:10 offset1:253
	s_wait_dscnt 0x0
	v_mul_f32_e32 v4, v1, v39
	v_mul_f32_e32 v33, v0, v39
	;; [unrolled: 1-line block ×3, first 2 shown]
	s_delay_alu instid0(VALU_DEP_3) | instskip(NEXT) | instid1(VALU_DEP_3)
	v_fma_f32 v32, v0, v38, -v4
	v_dual_mul_f32 v0, v3, v41 :: v_dual_fmac_f32 v33, v1, v38
	s_delay_alu instid0(VALU_DEP_3) | instskip(NEXT) | instid1(VALU_DEP_2)
	v_fmac_f32_e32 v39, v3, v40
	v_fma_f32 v38, v2, v40, -v0
	ds_load_2addr_b64 v[0:3], v69 offset0:2 offset1:245
	s_wait_loadcnt_dscnt 0x100
	v_mul_f32_e32 v4, v1, v47
	v_mul_f32_e32 v41, v0, v47
	s_wait_loadcnt 0x0
	v_mul_f32_e32 v47, v2, v67
	s_delay_alu instid0(VALU_DEP_3) | instskip(NEXT) | instid1(VALU_DEP_3)
	v_fma_f32 v40, v0, v46, -v4
	v_dual_mul_f32 v0, v3, v67 :: v_dual_fmac_f32 v41, v1, v46
	s_delay_alu instid0(VALU_DEP_3) | instskip(NEXT) | instid1(VALU_DEP_2)
	v_fmac_f32_e32 v47, v3, v66
	v_fma_f32 v46, v2, v66, -v0
	s_clause 0x2
	global_load_b64 v[50:51], v64, s[10:11] offset:46656
	global_load_b64 v[66:67], v64, s[10:11] offset:48600
	;; [unrolled: 1-line block ×3, first 2 shown]
	ds_load_2addr_b64 v[0:3], v60 offset0:8 offset1:251
	s_wait_loadcnt_dscnt 0x200
	v_mul_f32_e32 v4, v1, v51
	v_mul_f32_e32 v7, v0, v51
	s_wait_loadcnt 0x1
	v_mul_f32_e32 v51, v2, v67
	s_delay_alu instid0(VALU_DEP_3) | instskip(NEXT) | instid1(VALU_DEP_3)
	v_fma_f32 v6, v0, v50, -v4
	v_dual_mul_f32 v0, v3, v67 :: v_dual_fmac_f32 v7, v1, v50
	s_delay_alu instid0(VALU_DEP_3) | instskip(NEXT) | instid1(VALU_DEP_2)
	v_fmac_f32_e32 v51, v3, v66
	v_fma_f32 v50, v2, v66, -v0
	ds_load_2addr_b64 v[0:3], v58 offset0:8 offset1:251
	s_wait_dscnt 0x0
	v_mul_f32_e32 v4, v3, v25
	v_mul_f32_e32 v67, v2, v25
	s_wait_loadcnt 0x0
	v_mul_f32_e32 v25, v0, v55
	s_delay_alu instid0(VALU_DEP_3) | instskip(NEXT) | instid1(VALU_DEP_3)
	v_fma_f32 v66, v2, v24, -v4
	v_dual_mul_f32 v2, v1, v55 :: v_dual_fmac_f32 v67, v3, v24
	s_delay_alu instid0(VALU_DEP_3) | instskip(NEXT) | instid1(VALU_DEP_2)
	v_fmac_f32_e32 v25, v1, v54
	v_fma_f32 v24, v0, v54, -v2
	global_load_b64 v[54:55], v64, s[10:11] offset:31104
	ds_load_2addr_b64 v[0:3], v70 offset1:243
	s_wait_loadcnt_dscnt 0x0
	v_mul_f32_e32 v4, v1, v55
	v_mul_f32_e32 v5, v0, v55
	s_delay_alu instid0(VALU_DEP_2) | instskip(NEXT) | instid1(VALU_DEP_2)
	v_fma_f32 v4, v0, v54, -v4
	v_dual_mul_f32 v0, v3, v49 :: v_dual_fmac_f32 v5, v1, v54
	v_mul_f32_e32 v1, v2, v49
	s_delay_alu instid0(VALU_DEP_2) | instskip(SKIP_1) | instid1(VALU_DEP_3)
	v_fma_f32 v0, v2, v48, -v0
	v_add_nc_u32_e32 v2, 0x4400, v64
	v_fmac_f32_e32 v1, v3, v48
	ds_store_2addr_b64 v2, v[66:67], v[26:27] offset0:11 offset1:254
	v_add_nc_u32_e32 v2, 0x780, v64
	v_dual_mov_b32 v66, v58 :: v_dual_mov_b32 v67, v59
	ds_store_2addr_b64 v2, v[14:15], v[22:23] offset0:3 offset1:246
	v_add_nc_u32_e32 v2, 0x5380, v64
	ds_store_2addr_b64 v2, v[16:17], v[42:43] offset0:1 offset1:244
	v_add_nc_u32_e32 v2, 0x1680, v64
	;; [unrolled: 2-line block ×7, first 2 shown]
	ds_store_2addr_b64 v2, v[0:1], v[20:21] offset0:3 offset1:246
	v_mul_f32_e32 v0, v53, v57
	v_dual_mul_f32 v1, v52, v57 :: v_dual_add_nc_u32 v2, 0x9000, v64
	v_mov_b32_e32 v57, v61
	s_delay_alu instid0(VALU_DEP_3) | instskip(NEXT) | instid1(VALU_DEP_3)
	v_fma_f32 v0, v52, v56, -v0
	v_fmac_f32_e32 v1, v53, v56
	ds_store_2addr_b64 v2, v[18:19], v[34:35] offset0:9 offset1:252
	ds_store_2addr_b64 v72, v[10:11], v[44:45] offset0:7 offset1:250
	;; [unrolled: 1-line block ×4, first 2 shown]
	global_wb scope:SCOPE_SE
	s_wait_dscnt 0x0
	s_barrier_signal -1
	s_barrier_wait -1
	global_inv scope:SCOPE_SE
	ds_load_2addr_b64 v[36:39], v64 offset1:243
	ds_load_2addr_b64 v[4:7], v58 offset0:8 offset1:251
	ds_load_2addr_b64 v[8:11], v59 offset0:6 offset1:249
	v_mov_b32_e32 v58, v63
	s_wait_dscnt 0x1
	v_dual_add_f32 v0, v36, v6 :: v_dual_add_f32 v1, v37, v7
	s_wait_dscnt 0x0
	s_delay_alu instid0(VALU_DEP_1) | instskip(NEXT) | instid1(VALU_DEP_2)
	v_add_f32_e32 v48, v0, v8
	v_dual_add_f32 v0, v6, v8 :: v_dual_add_f32 v49, v1, v9
	v_add_f32_e32 v1, v7, v9
	s_delay_alu instid0(VALU_DEP_2) | instskip(SKIP_1) | instid1(VALU_DEP_3)
	v_fma_f32 v36, -0.5, v0, v36
	v_sub_f32_e32 v0, v7, v9
	v_fma_f32 v37, -0.5, v1, v37
	s_delay_alu instid0(VALU_DEP_2)
	v_fmamk_f32 v50, v0, 0xbf5db3d7, v36
	v_fmac_f32_e32 v36, 0x3f5db3d7, v0
	v_sub_f32_e32 v0, v6, v8
	ds_load_b64 v[52:53], v64 offset:50544
	ds_load_2addr_b64 v[6:9], v74 offset0:6 offset1:249
	ds_load_2addr_b64 v[12:15], v61 offset0:6 offset1:249
	;; [unrolled: 1-line block ×7, first 2 shown]
	v_mov_b32_e32 v63, v60
	v_mov_b32_e32 v61, v69
	v_fmamk_f32 v51, v0, 0x3f5db3d7, v37
	v_fmac_f32_e32 v37, 0xbf5db3d7, v0
	ds_load_2addr_b64 v[0:3], v69 offset0:2 offset1:245
	ds_load_2addr_b64 v[40:43], v60 offset0:8 offset1:251
	ds_load_2addr_b64 v[44:47], v70 offset1:243
	global_wb scope:SCOPE_SE
	s_wait_dscnt 0x0
	s_barrier_signal -1
	s_barrier_wait -1
	global_inv scope:SCOPE_SE
	scratch_load_b32 v54, off, off offset:260 th:TH_LOAD_LU ; 4-byte Folded Reload
	s_wait_loadcnt 0x0
	ds_store_2addr_b64 v54, v[48:49], v[50:51] offset1:1
	ds_store_b64 v54, v[36:37] offset:16
	v_dual_add_f32 v48, v38, v6 :: v_dual_add_f32 v49, v39, v7
	v_sub_f32_e32 v51, v7, v11
	v_dual_add_f32 v7, v7, v11 :: v_dual_add_f32 v50, v6, v10
	s_delay_alu instid0(VALU_DEP_3) | instskip(NEXT) | instid1(VALU_DEP_4)
	v_add_f32_e32 v48, v48, v10
	v_dual_sub_f32 v10, v6, v10 :: v_dual_add_f32 v49, v49, v11
	s_delay_alu instid0(VALU_DEP_3) | instskip(NEXT) | instid1(VALU_DEP_4)
	v_fmac_f32_e32 v39, -0.5, v7
	v_fma_f32 v38, -0.5, v50, v38
	v_dual_sub_f32 v36, v8, v16 :: v_dual_sub_f32 v11, v9, v17
	s_delay_alu instid0(VALU_DEP_3)
	v_fmamk_f32 v7, v10, 0x3f5db3d7, v39
	v_fmac_f32_e32 v39, 0xbf5db3d7, v10
	scratch_load_b32 v10, off, off offset:244 th:TH_LOAD_LU ; 4-byte Folded Reload
	v_fmamk_f32 v6, v51, 0xbf5db3d7, v38
	v_fmac_f32_e32 v38, 0x3f5db3d7, v51
	s_wait_loadcnt 0x0
	ds_store_2addr_b64 v10, v[48:49], v[6:7] offset1:1
	ds_store_b64 v10, v[38:39] offset:16
	v_add_f32_e32 v10, v12, v8
	v_dual_add_f32 v6, v8, v16 :: v_dual_add_f32 v7, v9, v17
	s_delay_alu instid0(VALU_DEP_2)
	v_dual_add_f32 v9, v13, v9 :: v_dual_add_f32 v8, v10, v16
	scratch_load_b32 v16, off, off offset:256 th:TH_LOAD_LU ; 4-byte Folded Reload
	v_fma_f32 v6, -0.5, v6, v12
	v_fma_f32 v7, -0.5, v7, v13
	v_add_f32_e32 v9, v9, v17
	v_dual_add_f32 v12, v21, v19 :: v_dual_sub_f32 v13, v20, v18
	s_delay_alu instid0(VALU_DEP_4) | instskip(NEXT) | instid1(VALU_DEP_4)
	v_fmamk_f32 v10, v11, 0xbf5db3d7, v6
	v_dual_fmac_f32 v6, 0x3f5db3d7, v11 :: v_dual_fmamk_f32 v11, v36, 0x3f5db3d7, v7
	v_fmac_f32_e32 v7, 0xbf5db3d7, v36
	s_wait_loadcnt 0x0
	ds_store_2addr_b64 v16, v[8:9], v[10:11] offset1:1
	ds_store_b64 v16, v[6:7] offset:16
	v_add_f32_e32 v10, v20, v18
	v_dual_add_f32 v8, v14, v20 :: v_dual_add_f32 v9, v15, v21
	v_sub_f32_e32 v11, v21, v19
	v_fmac_f32_e32 v15, -0.5, v12
	s_delay_alu instid0(VALU_DEP_4)
	v_fma_f32 v14, -0.5, v10, v14
	scratch_load_b32 v10, off, off offset:240 th:TH_LOAD_LU ; 4-byte Folded Reload
	v_dual_add_f32 v8, v8, v18 :: v_dual_add_f32 v9, v9, v19
	v_fmamk_f32 v7, v13, 0x3f5db3d7, v15
	v_fmamk_f32 v6, v11, 0xbf5db3d7, v14
	v_fmac_f32_e32 v14, 0x3f5db3d7, v11
	v_fmac_f32_e32 v15, 0xbf5db3d7, v13
	s_wait_loadcnt 0x0
	ds_store_2addr_b64 v10, v[8:9], v[6:7] offset1:1
	ds_store_b64 v10, v[14:15] offset:16
	scratch_load_b32 v14, off, off offset:252 th:TH_LOAD_LU ; 4-byte Folded Reload
	v_dual_add_f32 v6, v22, v28 :: v_dual_add_f32 v7, v23, v29
	v_dual_add_f32 v8, v24, v22 :: v_dual_sub_f32 v11, v23, v29
	v_dual_add_f32 v9, v25, v23 :: v_dual_sub_f32 v12, v22, v28
	s_delay_alu instid0(VALU_DEP_3) | instskip(NEXT) | instid1(VALU_DEP_4)
	v_fma_f32 v6, -0.5, v6, v24
	v_fma_f32 v7, -0.5, v7, v25
	s_delay_alu instid0(VALU_DEP_3) | instskip(NEXT) | instid1(VALU_DEP_3)
	v_dual_add_f32 v8, v8, v28 :: v_dual_add_f32 v9, v9, v29
	v_dual_sub_f32 v13, v32, v30 :: v_dual_fmamk_f32 v10, v11, 0xbf5db3d7, v6
	s_delay_alu instid0(VALU_DEP_3)
	v_dual_fmac_f32 v6, 0x3f5db3d7, v11 :: v_dual_fmamk_f32 v11, v12, 0x3f5db3d7, v7
	v_dual_fmac_f32 v7, 0xbf5db3d7, v12 :: v_dual_add_f32 v12, v33, v31
	s_wait_loadcnt 0x0
	ds_store_2addr_b64 v14, v[8:9], v[10:11] offset1:1
	ds_store_b64 v14, v[6:7] offset:16
	v_add_f32_e32 v10, v32, v30
	v_dual_add_f32 v8, v26, v32 :: v_dual_add_f32 v9, v27, v33
	v_sub_f32_e32 v11, v33, v31
	v_fmac_f32_e32 v27, -0.5, v12
	s_delay_alu instid0(VALU_DEP_4)
	v_fma_f32 v26, -0.5, v10, v26
	scratch_load_b32 v10, off, off offset:236 th:TH_LOAD_LU ; 4-byte Folded Reload
	v_dual_add_f32 v8, v8, v30 :: v_dual_add_f32 v9, v9, v31
	v_fmamk_f32 v7, v13, 0x3f5db3d7, v27
	v_fmamk_f32 v6, v11, 0xbf5db3d7, v26
	v_fmac_f32_e32 v26, 0x3f5db3d7, v11
	v_fmac_f32_e32 v27, 0xbf5db3d7, v13
	s_wait_loadcnt 0x0
	ds_store_2addr_b64 v10, v[8:9], v[6:7] offset1:1
	ds_store_b64 v10, v[26:27] offset:16
	scratch_load_b32 v12, off, off offset:248 th:TH_LOAD_LU ; 4-byte Folded Reload
	v_dual_add_f32 v7, v34, v40 :: v_dual_add_f32 v8, v35, v41
	v_dual_add_f32 v6, v0, v34 :: v_dual_sub_f32 v9, v35, v41
	v_dual_add_f32 v10, v1, v35 :: v_dual_sub_f32 v11, v34, v40
	s_delay_alu instid0(VALU_DEP_3) | instskip(NEXT) | instid1(VALU_DEP_4)
	v_fma_f32 v0, -0.5, v7, v0
	v_fma_f32 v1, -0.5, v8, v1
	s_delay_alu instid0(VALU_DEP_4) | instskip(NEXT) | instid1(VALU_DEP_4)
	v_add_f32_e32 v6, v6, v40
	v_dual_add_f32 v7, v10, v41 :: v_dual_add_f32 v10, v45, v43
	s_delay_alu instid0(VALU_DEP_4) | instskip(NEXT) | instid1(VALU_DEP_4)
	v_fmamk_f32 v8, v9, 0xbf5db3d7, v0
	v_dual_fmac_f32 v0, 0x3f5db3d7, v9 :: v_dual_fmamk_f32 v9, v11, 0x3f5db3d7, v1
	v_fmac_f32_e32 v1, 0xbf5db3d7, v11
	v_sub_f32_e32 v11, v44, v42
	s_wait_loadcnt 0x0
	ds_store_2addr_b64 v12, v[6:7], v[8:9] offset1:1
	ds_store_b64 v12, v[0:1] offset:16
	v_add_f32_e32 v8, v44, v42
	v_dual_add_f32 v6, v2, v44 :: v_dual_add_f32 v7, v3, v45
	v_sub_f32_e32 v9, v45, v43
	v_fmac_f32_e32 v3, -0.5, v10
	s_delay_alu instid0(VALU_DEP_4)
	v_fma_f32 v2, -0.5, v8, v2
	scratch_load_b32 v8, off, off offset:232 th:TH_LOAD_LU ; 4-byte Folded Reload
	v_dual_add_f32 v6, v6, v42 :: v_dual_add_f32 v7, v7, v43
	v_fmamk_f32 v1, v11, 0x3f5db3d7, v3
	v_fmamk_f32 v0, v9, 0xbf5db3d7, v2
	v_fmac_f32_e32 v2, 0x3f5db3d7, v9
	v_fmac_f32_e32 v3, 0xbf5db3d7, v11
	s_wait_loadcnt 0x0
	ds_store_2addr_b64 v8, v[6:7], v[0:1] offset1:1
	ds_store_b64 v8, v[2:3] offset:16
	v_dual_add_f32 v6, v47, v53 :: v_dual_add_f32 v1, v5, v47
	v_add_f32_e32 v2, v46, v52
	v_dual_add_f32 v0, v4, v46 :: v_dual_sub_f32 v3, v47, v53
	s_delay_alu instid0(VALU_DEP_3) | instskip(SKIP_4) | instid1(VALU_DEP_2)
	v_fmac_f32_e32 v5, -0.5, v6
	scratch_load_b32 v6, off, off offset:228 th:TH_LOAD_LU ; 4-byte Folded Reload
	v_sub_f32_e32 v7, v46, v52
	v_fma_f32 v4, -0.5, v2, v4
	v_dual_add_f32 v0, v0, v52 :: v_dual_add_f32 v1, v1, v53
	v_fmamk_f32 v2, v3, 0xbf5db3d7, v4
	s_delay_alu instid0(VALU_DEP_4)
	v_dual_fmac_f32 v4, 0x3f5db3d7, v3 :: v_dual_fmamk_f32 v3, v7, 0x3f5db3d7, v5
	v_fmac_f32_e32 v5, 0xbf5db3d7, v7
	s_wait_loadcnt 0x0
	ds_store_2addr_b64 v6, v[0:1], v[2:3] offset1:1
	ds_store_b64 v6, v[4:5] offset:16
	global_wb scope:SCOPE_SE
	s_wait_dscnt 0x0
	s_barrier_signal -1
	s_barrier_wait -1
	global_inv scope:SCOPE_SE
	scratch_load_b128 v[4:7], off, off offset:492 th:TH_LOAD_LU ; 16-byte Folded Reload
	ds_load_b64 v[0:1], v64 offset:50544
	scratch_load_b128 v[9:12], off, off offset:364 th:TH_LOAD_LU ; 16-byte Folded Reload
	s_wait_loadcnt_dscnt 0x100
	v_mul_f32_e32 v22, v7, v1
	s_delay_alu instid0(VALU_DEP_1) | instskip(SKIP_1) | instid1(VALU_DEP_1)
	v_fmac_f32_e32 v22, v6, v0
	v_mul_f32_e32 v0, v7, v0
	v_fma_f32 v23, v6, v1, -v0
	ds_load_2addr_b64 v[0:3], v70 offset1:243
	s_wait_dscnt 0x0
	v_mul_f32_e32 v24, v5, v3
	s_delay_alu instid0(VALU_DEP_1) | instskip(SKIP_1) | instid1(VALU_DEP_1)
	v_fmac_f32_e32 v24, v4, v2
	v_mul_f32_e32 v2, v5, v2
	v_fma_f32 v25, v4, v3, -v2
	scratch_load_b128 v[2:5], off, off offset:412 th:TH_LOAD_LU ; 16-byte Folded Reload
	s_wait_loadcnt 0x0
	v_mul_f32_e32 v26, v3, v1
	s_delay_alu instid0(VALU_DEP_1) | instskip(SKIP_1) | instid1(VALU_DEP_1)
	v_fmac_f32_e32 v26, v2, v0
	v_mul_f32_e32 v0, v3, v0
	v_fma_f32 v27, v2, v1, -v0
	ds_load_2addr_b64 v[0:3], v63 offset0:8 offset1:251
	s_wait_dscnt 0x0
	v_mul_f32_e32 v28, v5, v3
	s_delay_alu instid0(VALU_DEP_1) | instskip(SKIP_1) | instid1(VALU_DEP_1)
	v_fmac_f32_e32 v28, v4, v2
	v_mul_f32_e32 v2, v5, v2
	v_fma_f32 v29, v4, v3, -v2
	scratch_load_b128 v[4:7], off, off offset:396 th:TH_LOAD_LU ; 16-byte Folded Reload
	s_wait_loadcnt 0x0
	v_mul_f32_e32 v30, v7, v1
	s_delay_alu instid0(VALU_DEP_1) | instskip(SKIP_1) | instid1(VALU_DEP_1)
	v_fmac_f32_e32 v30, v6, v0
	v_mul_f32_e32 v0, v7, v0
	v_fma_f32 v31, v6, v1, -v0
	ds_load_2addr_b64 v[0:3], v75 offset0:10 offset1:253
	;; [unrolled: 14-line block ×7, first 2 shown]
	s_wait_dscnt 0x0
	v_mul_f32_e32 v52, v5, v3
	v_mul_f32_e32 v6, v12, v1
	s_delay_alu instid0(VALU_DEP_2) | instskip(SKIP_1) | instid1(VALU_DEP_3)
	v_fmac_f32_e32 v52, v4, v2
	v_mul_f32_e32 v2, v5, v2
	v_fmac_f32_e32 v6, v11, v0
	v_mul_f32_e32 v0, v12, v0
	s_delay_alu instid0(VALU_DEP_3) | instskip(NEXT) | instid1(VALU_DEP_2)
	v_fma_f32 v53, v4, v3, -v2
	v_fma_f32 v7, v11, v1, -v0
	ds_load_2addr_b64 v[0:3], v66 offset0:8 offset1:251
	s_wait_dscnt 0x0
	v_mul_f32_e32 v8, v10, v3
	s_delay_alu instid0(VALU_DEP_1) | instskip(SKIP_1) | instid1(VALU_DEP_2)
	v_fmac_f32_e32 v8, v9, v2
	v_mul_f32_e32 v2, v10, v2
	v_sub_f32_e32 v55, v8, v6
	s_delay_alu instid0(VALU_DEP_2) | instskip(SKIP_4) | instid1(VALU_DEP_1)
	v_fma_f32 v9, v9, v3, -v2
	ds_load_2addr_b64 v[2:5], v64 offset1:243
	v_sub_f32_e32 v54, v9, v7
	s_wait_dscnt 0x0
	v_dual_add_f32 v10, v3, v9 :: v_dual_add_f32 v9, v9, v7
	v_add_f32_e32 v19, v10, v7
	v_add_f32_e32 v7, v2, v8
	s_delay_alu instid0(VALU_DEP_3) | instskip(NEXT) | instid1(VALU_DEP_2)
	v_fma_f32 v3, -0.5, v9, v3
	v_add_f32_e32 v18, v7, v6
	v_add_f32_e32 v7, v8, v6
	s_delay_alu instid0(VALU_DEP_3) | instskip(SKIP_1) | instid1(VALU_DEP_3)
	v_fmamk_f32 v21, v55, 0x3f5db3d7, v3
	v_fmac_f32_e32 v3, 0xbf5db3d7, v55
	v_fma_f32 v2, -0.5, v7, v2
	ds_load_2addr_b64 v[6:9], v57 offset0:6 offset1:249
	ds_load_2addr_b64 v[10:13], v73 offset0:12 offset1:255
	;; [unrolled: 1-line block ×3, first 2 shown]
	global_wb scope:SCOPE_SE
	s_wait_dscnt 0x0
	s_barrier_signal -1
	s_barrier_wait -1
	global_inv scope:SCOPE_SE
	scratch_load_b32 v59, off, off offset:360 th:TH_LOAD_LU ; 4-byte Folded Reload
	v_fmamk_f32 v20, v54, 0xbf5db3d7, v2
	v_fmac_f32_e32 v2, 0x3f5db3d7, v54
	s_wait_loadcnt 0x0
	ds_store_b64 v59, v[2:3] offset:48
	v_add_f32_e32 v2, v5, v51
	ds_store_2addr_b64 v59, v[18:19], v[20:21] offset1:3
	v_add_f32_e32 v19, v50, v52
	v_dual_sub_f32 v21, v50, v52 :: v_dual_add_f32 v18, v51, v53
	v_dual_add_f32 v3, v2, v53 :: v_dual_add_f32 v2, v4, v50
	scratch_load_b32 v50, off, off offset:356 th:TH_LOAD_LU ; 4-byte Folded Reload
	v_sub_f32_e32 v20, v51, v53
	v_fma_f32 v4, -0.5, v19, v4
	v_dual_fmac_f32 v5, -0.5, v18 :: v_dual_add_f32 v2, v2, v52
	s_delay_alu instid0(VALU_DEP_2) | instskip(NEXT) | instid1(VALU_DEP_2)
	v_fmamk_f32 v18, v20, 0xbf5db3d7, v4
	v_dual_fmamk_f32 v19, v21, 0x3f5db3d7, v5 :: v_dual_fmac_f32 v4, 0x3f5db3d7, v20
	v_fmac_f32_e32 v5, 0xbf5db3d7, v21
	scratch_load_b32 v20, off, off offset:352 th:TH_LOAD_LU ; 4-byte Folded Reload
	s_wait_loadcnt 0x1
	ds_store_b64 v50, v[4:5] offset:48
	v_add_f32_e32 v4, v48, v46
	ds_store_2addr_b64 v50, v[2:3], v[18:19] offset1:3
	v_add_f32_e32 v2, v7, v49
	v_sub_f32_e32 v18, v49, v47
	v_add_f32_e32 v5, v49, v47
	v_fma_f32 v4, -0.5, v4, v6
	v_sub_f32_e32 v19, v48, v46
	v_add_f32_e32 v3, v2, v47
	v_add_f32_e32 v2, v6, v48
	v_fma_f32 v5, -0.5, v5, v7
	v_fmamk_f32 v6, v18, 0xbf5db3d7, v4
	v_fmac_f32_e32 v4, 0x3f5db3d7, v18
	scratch_load_b32 v18, off, off offset:348 th:TH_LOAD_LU ; 4-byte Folded Reload
	v_dual_add_f32 v2, v2, v46 :: v_dual_fmamk_f32 v7, v19, 0x3f5db3d7, v5
	v_fmac_f32_e32 v5, 0xbf5db3d7, v19
	s_wait_loadcnt 0x1
	ds_store_2addr_b64 v20, v[2:3], v[6:7] offset1:3
	ds_store_b64 v20, v[4:5] offset:48
	v_add_f32_e32 v2, v9, v43
	v_dual_add_f32 v4, v43, v45 :: v_dual_add_f32 v5, v42, v44
	v_dual_sub_f32 v6, v43, v45 :: v_dual_sub_f32 v7, v42, v44
	s_delay_alu instid0(VALU_DEP_3) | instskip(NEXT) | instid1(VALU_DEP_3)
	v_dual_add_f32 v3, v2, v45 :: v_dual_add_f32 v2, v8, v42
	v_fma_f32 v8, -0.5, v5, v8
	s_delay_alu instid0(VALU_DEP_4) | instskip(NEXT) | instid1(VALU_DEP_3)
	v_fmac_f32_e32 v9, -0.5, v4
	v_add_f32_e32 v2, v2, v44
	s_delay_alu instid0(VALU_DEP_3) | instskip(NEXT) | instid1(VALU_DEP_3)
	v_fmamk_f32 v4, v6, 0xbf5db3d7, v8
	v_dual_fmamk_f32 v5, v7, 0x3f5db3d7, v9 :: v_dual_fmac_f32 v8, 0x3f5db3d7, v6
	v_fmac_f32_e32 v9, 0xbf5db3d7, v7
	s_wait_loadcnt 0x0
	ds_store_2addr_b64 v18, v[2:3], v[4:5] offset1:3
	v_add_f32_e32 v2, v11, v41
	v_add_f32_e32 v4, v40, v38
	ds_store_b64 v18, v[8:9] offset:48
	v_sub_f32_e32 v8, v41, v39
	v_add_f32_e32 v5, v41, v39
	v_add_f32_e32 v3, v2, v39
	v_add_f32_e32 v2, v10, v40
	v_fma_f32 v4, -0.5, v4, v10
	scratch_load_b32 v10, off, off offset:344 th:TH_LOAD_LU ; 4-byte Folded Reload
	v_sub_f32_e32 v9, v40, v38
	v_fma_f32 v5, -0.5, v5, v11
	v_add_f32_e32 v2, v2, v38
	v_fmamk_f32 v6, v8, 0xbf5db3d7, v4
	v_fmac_f32_e32 v4, 0x3f5db3d7, v8
	scratch_load_b32 v8, off, off offset:340 th:TH_LOAD_LU ; 4-byte Folded Reload
	v_fmamk_f32 v7, v9, 0x3f5db3d7, v5
	v_fmac_f32_e32 v5, 0xbf5db3d7, v9
	v_sub_f32_e32 v9, v32, v30
	s_wait_loadcnt 0x1
	ds_store_2addr_b64 v10, v[2:3], v[6:7] offset1:3
	ds_store_b64 v10, v[4:5] offset:48
	scratch_load_b32 v10, off, off offset:336 th:TH_LOAD_LU ; 4-byte Folded Reload
	v_add_f32_e32 v2, v13, v35
	v_dual_add_f32 v4, v35, v37 :: v_dual_add_f32 v5, v34, v36
	v_dual_sub_f32 v6, v35, v37 :: v_dual_sub_f32 v7, v34, v36
	s_delay_alu instid0(VALU_DEP_3) | instskip(NEXT) | instid1(VALU_DEP_3)
	v_dual_add_f32 v3, v2, v37 :: v_dual_add_f32 v2, v12, v34
	v_fma_f32 v12, -0.5, v5, v12
	s_delay_alu instid0(VALU_DEP_4) | instskip(NEXT) | instid1(VALU_DEP_3)
	v_fmac_f32_e32 v13, -0.5, v4
	v_add_f32_e32 v2, v2, v36
	s_delay_alu instid0(VALU_DEP_3) | instskip(NEXT) | instid1(VALU_DEP_3)
	v_fmamk_f32 v4, v6, 0xbf5db3d7, v12
	v_dual_fmamk_f32 v5, v7, 0x3f5db3d7, v13 :: v_dual_fmac_f32 v12, 0x3f5db3d7, v6
	v_fmac_f32_e32 v13, 0xbf5db3d7, v7
	s_wait_loadcnt 0x1
	ds_store_2addr_b64 v8, v[2:3], v[4:5] offset1:3
	v_add_f32_e32 v4, v32, v30
	ds_store_b64 v8, v[12:13] offset:48
	v_sub_f32_e32 v8, v33, v31
	v_dual_add_f32 v2, v15, v33 :: v_dual_add_f32 v5, v33, v31
	v_fma_f32 v4, -0.5, v4, v14
	s_delay_alu instid0(VALU_DEP_2) | instskip(SKIP_1) | instid1(VALU_DEP_3)
	v_add_f32_e32 v3, v2, v31
	v_add_f32_e32 v2, v14, v32
	v_fmamk_f32 v6, v8, 0xbf5db3d7, v4
	v_fmac_f32_e32 v4, 0x3f5db3d7, v8
	scratch_load_b32 v8, off, off offset:312 th:TH_LOAD_LU ; 4-byte Folded Reload
	v_fma_f32 v5, -0.5, v5, v15
	s_delay_alu instid0(VALU_DEP_1)
	v_dual_add_f32 v2, v2, v30 :: v_dual_fmamk_f32 v7, v9, 0x3f5db3d7, v5
	v_fmac_f32_e32 v5, 0xbf5db3d7, v9
	s_wait_loadcnt 0x1
	ds_store_2addr_b64 v10, v[2:3], v[6:7] offset1:3
	ds_store_b64 v10, v[4:5] offset:48
	v_dual_add_f32 v2, v26, v28 :: v_dual_add_f32 v3, v16, v26
	v_add_f32_e32 v4, v17, v27
	v_dual_sub_f32 v6, v27, v29 :: v_dual_sub_f32 v7, v26, v28
	s_delay_alu instid0(VALU_DEP_3) | instskip(NEXT) | instid1(VALU_DEP_3)
	v_fma_f32 v16, -0.5, v2, v16
	v_dual_add_f32 v2, v3, v28 :: v_dual_add_f32 v3, v4, v29
	v_add_f32_e32 v4, v27, v29
	s_delay_alu instid0(VALU_DEP_1) | instskip(SKIP_1) | instid1(VALU_DEP_2)
	v_dual_fmac_f32 v17, -0.5, v4 :: v_dual_fmamk_f32 v4, v6, 0xbf5db3d7, v16
	v_fmac_f32_e32 v16, 0x3f5db3d7, v6
	v_dual_sub_f32 v6, v25, v23 :: v_dual_fmamk_f32 v5, v7, 0x3f5db3d7, v17
	v_fmac_f32_e32 v17, 0xbf5db3d7, v7
	v_sub_f32_e32 v7, v24, v22
	s_wait_loadcnt 0x0
	ds_store_2addr_b64 v8, v[2:3], v[4:5] offset1:3
	ds_store_b64 v8, v[16:17] offset:48
	scratch_load_b32 v8, off, off offset:316 th:TH_LOAD_LU ; 4-byte Folded Reload
	v_add_f32_e32 v2, v24, v22
	v_dual_add_f32 v3, v0, v24 :: v_dual_add_f32 v4, v1, v25
	s_delay_alu instid0(VALU_DEP_2) | instskip(NEXT) | instid1(VALU_DEP_2)
	v_fma_f32 v0, -0.5, v2, v0
	v_dual_add_f32 v2, v3, v22 :: v_dual_add_f32 v3, v4, v23
	v_add_f32_e32 v4, v25, v23
	s_delay_alu instid0(VALU_DEP_1) | instskip(NEXT) | instid1(VALU_DEP_1)
	v_dual_fmac_f32 v1, -0.5, v4 :: v_dual_fmamk_f32 v4, v6, 0xbf5db3d7, v0
	v_dual_fmac_f32 v0, 0x3f5db3d7, v6 :: v_dual_fmamk_f32 v5, v7, 0x3f5db3d7, v1
	v_fmac_f32_e32 v1, 0xbf5db3d7, v7
	s_wait_loadcnt 0x0
	ds_store_2addr_b64 v8, v[2:3], v[4:5] offset1:3
	ds_store_b64 v8, v[0:1] offset:48
	global_wb scope:SCOPE_SE
	s_wait_dscnt 0x0
	s_barrier_signal -1
	s_barrier_wait -1
	global_inv scope:SCOPE_SE
	scratch_load_b128 v[4:7], off, off offset:684 th:TH_LOAD_LU ; 16-byte Folded Reload
	ds_load_b64 v[0:1], v64 offset:50544
	scratch_load_b128 v[9:12], off, off offset:476 th:TH_LOAD_LU ; 16-byte Folded Reload
	s_wait_dscnt 0x0
	v_mul_f32_e32 v22, v243, v1
	s_delay_alu instid0(VALU_DEP_1) | instskip(SKIP_1) | instid1(VALU_DEP_1)
	v_fmac_f32_e32 v22, v242, v0
	v_mul_f32_e32 v0, v243, v0
	v_fma_f32 v23, v242, v1, -v0
	ds_load_2addr_b64 v[0:3], v70 offset1:243
	s_wait_dscnt 0x0
	v_mul_f32_e32 v24, v241, v3
	v_mul_f32_e32 v26, v249, v1
	s_delay_alu instid0(VALU_DEP_2) | instskip(SKIP_1) | instid1(VALU_DEP_3)
	v_fmac_f32_e32 v24, v240, v2
	v_mul_f32_e32 v2, v241, v2
	v_fmac_f32_e32 v26, v248, v0
	v_mul_f32_e32 v0, v249, v0
	s_delay_alu instid0(VALU_DEP_3) | instskip(NEXT) | instid1(VALU_DEP_2)
	v_fma_f32 v25, v240, v3, -v2
	v_fma_f32 v27, v248, v1, -v0
	ds_load_2addr_b64 v[0:3], v63 offset0:8 offset1:251
	s_wait_dscnt 0x0
	v_mul_f32_e32 v28, v251, v3
	v_mul_f32_e32 v30, v247, v1
	s_delay_alu instid0(VALU_DEP_2) | instskip(SKIP_1) | instid1(VALU_DEP_3)
	v_fmac_f32_e32 v28, v250, v2
	v_mul_f32_e32 v2, v251, v2
	v_fmac_f32_e32 v30, v246, v0
	v_mul_f32_e32 v0, v247, v0
	s_delay_alu instid0(VALU_DEP_3) | instskip(NEXT) | instid1(VALU_DEP_2)
	v_fma_f32 v29, v250, v3, -v2
	v_fma_f32 v31, v246, v1, -v0
	ds_load_2addr_b64 v[0:3], v75 offset0:10 offset1:253
	s_wait_dscnt 0x0
	v_mul_f32_e32 v32, v245, v3
	v_mul_f32_e32 v34, v253, v1
	s_delay_alu instid0(VALU_DEP_2) | instskip(SKIP_1) | instid1(VALU_DEP_3)
	v_fmac_f32_e32 v32, v244, v2
	v_mul_f32_e32 v2, v245, v2
	v_fmac_f32_e32 v34, v252, v0
	v_mul_f32_e32 v0, v253, v0
	s_delay_alu instid0(VALU_DEP_3) | instskip(NEXT) | instid1(VALU_DEP_2)
	v_fma_f32 v33, v244, v3, -v2
	v_fma_f32 v35, v252, v1, -v0
	ds_load_2addr_b64 v[0:3], v62 offset0:2 offset1:245
	s_wait_dscnt 0x0
	v_mul_f32_e32 v36, v255, v3
	s_delay_alu instid0(VALU_DEP_1) | instskip(SKIP_1) | instid1(VALU_DEP_1)
	v_fmac_f32_e32 v36, v254, v2
	v_mul_f32_e32 v2, v255, v2
	v_fma_f32 v37, v254, v3, -v2
	s_wait_loadcnt 0x1
	v_mul_f32_e32 v38, v7, v1
	s_delay_alu instid0(VALU_DEP_1) | instskip(SKIP_1) | instid1(VALU_DEP_1)
	v_fmac_f32_e32 v38, v6, v0
	v_mul_f32_e32 v0, v7, v0
	v_fma_f32 v39, v6, v1, -v0
	ds_load_2addr_b64 v[0:3], v68 offset0:4 offset1:247
	s_wait_dscnt 0x0
	v_mul_f32_e32 v40, v5, v3
	s_delay_alu instid0(VALU_DEP_1) | instskip(SKIP_1) | instid1(VALU_DEP_1)
	v_fmac_f32_e32 v40, v4, v2
	v_mul_f32_e32 v2, v5, v2
	v_fma_f32 v41, v4, v3, -v2
	scratch_load_b128 v[2:5], off, off offset:460 th:TH_LOAD_LU ; 16-byte Folded Reload
	s_wait_loadcnt 0x0
	v_mul_f32_e32 v42, v3, v1
	s_delay_alu instid0(VALU_DEP_1) | instskip(SKIP_1) | instid1(VALU_DEP_1)
	v_fmac_f32_e32 v42, v2, v0
	v_mul_f32_e32 v0, v3, v0
	v_fma_f32 v43, v2, v1, -v0
	ds_load_2addr_b64 v[0:3], v58 offset0:12 offset1:255
	s_wait_dscnt 0x0
	v_mul_f32_e32 v44, v5, v3
	s_delay_alu instid0(VALU_DEP_1) | instskip(SKIP_1) | instid1(VALU_DEP_1)
	v_fmac_f32_e32 v44, v4, v2
	v_mul_f32_e32 v2, v5, v2
	v_fma_f32 v45, v4, v3, -v2
	scratch_load_b128 v[4:7], off, off offset:444 th:TH_LOAD_LU ; 16-byte Folded Reload
	;; [unrolled: 14-line block ×3, first 2 shown]
	s_wait_loadcnt 0x0
	v_mul_f32_e32 v50, v3, v1
	s_delay_alu instid0(VALU_DEP_1) | instskip(SKIP_1) | instid1(VALU_DEP_1)
	v_fmac_f32_e32 v50, v2, v0
	v_mul_f32_e32 v0, v3, v0
	v_fma_f32 v51, v2, v1, -v0
	ds_load_2addr_b64 v[0:3], v67 offset0:6 offset1:249
	s_wait_dscnt 0x0
	v_mul_f32_e32 v52, v5, v3
	v_mul_f32_e32 v6, v12, v1
	s_delay_alu instid0(VALU_DEP_2) | instskip(SKIP_1) | instid1(VALU_DEP_3)
	v_fmac_f32_e32 v52, v4, v2
	v_mul_f32_e32 v2, v5, v2
	v_fmac_f32_e32 v6, v11, v0
	v_mul_f32_e32 v0, v12, v0
	s_delay_alu instid0(VALU_DEP_3) | instskip(NEXT) | instid1(VALU_DEP_2)
	v_fma_f32 v53, v4, v3, -v2
	v_fma_f32 v7, v11, v1, -v0
	ds_load_2addr_b64 v[0:3], v66 offset0:8 offset1:251
	s_wait_dscnt 0x0
	v_mul_f32_e32 v8, v10, v3
	s_delay_alu instid0(VALU_DEP_1) | instskip(SKIP_1) | instid1(VALU_DEP_2)
	v_fmac_f32_e32 v8, v9, v2
	v_mul_f32_e32 v2, v10, v2
	v_sub_f32_e32 v55, v8, v6
	s_delay_alu instid0(VALU_DEP_2) | instskip(SKIP_3) | instid1(VALU_DEP_1)
	v_fma_f32 v9, v9, v3, -v2
	ds_load_2addr_b64 v[2:5], v64 offset1:243
	s_wait_dscnt 0x0
	v_dual_sub_f32 v54, v9, v7 :: v_dual_add_f32 v11, v3, v9
	v_dual_add_f32 v10, v2, v8 :: v_dual_add_f32 v19, v11, v7
	v_add_f32_e32 v7, v9, v7
	v_add_f32_e32 v9, v8, v6
	s_delay_alu instid0(VALU_DEP_3) | instskip(NEXT) | instid1(VALU_DEP_3)
	v_add_f32_e32 v18, v10, v6
	v_fma_f32 v3, -0.5, v7, v3
	s_delay_alu instid0(VALU_DEP_3)
	v_fma_f32 v2, -0.5, v9, v2
	ds_load_2addr_b64 v[6:9], v57 offset0:6 offset1:249
	ds_load_2addr_b64 v[10:13], v73 offset0:12 offset1:255
	;; [unrolled: 1-line block ×3, first 2 shown]
	global_wb scope:SCOPE_SE
	s_wait_dscnt 0x0
	s_barrier_signal -1
	s_barrier_wait -1
	global_inv scope:SCOPE_SE
	scratch_load_b32 v59, off, off offset:508 th:TH_LOAD_LU ; 4-byte Folded Reload
	v_fmamk_f32 v20, v54, 0xbf5db3d7, v2
	v_dual_fmamk_f32 v21, v55, 0x3f5db3d7, v3 :: v_dual_fmac_f32 v2, 0x3f5db3d7, v54
	v_fmac_f32_e32 v3, 0xbf5db3d7, v55
	s_wait_loadcnt 0x0
	ds_store_2addr_b64 v59, v[18:19], v[20:21] offset1:9
	ds_store_b64 v59, v[2:3] offset:144
	v_dual_add_f32 v2, v50, v52 :: v_dual_add_f32 v3, v4, v50
	v_sub_f32_e32 v21, v50, v52
	scratch_load_b32 v50, off, off offset:512 th:TH_LOAD_LU ; 4-byte Folded Reload
	v_add_f32_e32 v18, v5, v51
	v_fma_f32 v4, -0.5, v2, v4
	v_add_f32_e32 v2, v3, v52
	v_sub_f32_e32 v20, v51, v53
	s_delay_alu instid0(VALU_DEP_4) | instskip(SKIP_1) | instid1(VALU_DEP_1)
	v_add_f32_e32 v3, v18, v53
	v_add_f32_e32 v18, v51, v53
	v_dual_fmac_f32 v5, -0.5, v18 :: v_dual_fmamk_f32 v18, v20, 0xbf5db3d7, v4
	v_fmac_f32_e32 v4, 0x3f5db3d7, v20
	scratch_load_b32 v20, off, off offset:540 th:TH_LOAD_LU ; 4-byte Folded Reload
	v_fmamk_f32 v19, v21, 0x3f5db3d7, v5
	v_fmac_f32_e32 v5, 0xbf5db3d7, v21
	s_wait_loadcnt 0x1
	ds_store_b64 v50, v[4:5] offset:144
	v_add_f32_e32 v4, v48, v46
	ds_store_2addr_b64 v50, v[2:3], v[18:19] offset1:9
	v_sub_f32_e32 v18, v49, v47
	v_dual_add_f32 v2, v6, v48 :: v_dual_add_f32 v5, v49, v47
	v_fma_f32 v4, -0.5, v4, v6
	v_add_f32_e32 v3, v7, v49
	v_sub_f32_e32 v19, v48, v46
	s_delay_alu instid0(VALU_DEP_4)
	v_add_f32_e32 v2, v2, v46
	v_fma_f32 v5, -0.5, v5, v7
	v_fmamk_f32 v6, v18, 0xbf5db3d7, v4
	v_fmac_f32_e32 v4, 0x3f5db3d7, v18
	scratch_load_b32 v18, off, off offset:536 th:TH_LOAD_LU ; 4-byte Folded Reload
	v_add_f32_e32 v3, v3, v47
	v_fmamk_f32 v7, v19, 0x3f5db3d7, v5
	v_fmac_f32_e32 v5, 0xbf5db3d7, v19
	s_wait_loadcnt 0x1
	ds_store_2addr_b64 v20, v[2:3], v[6:7] offset1:9
	ds_store_b64 v20, v[4:5] offset:144
	v_dual_add_f32 v2, v42, v44 :: v_dual_add_f32 v3, v8, v42
	v_add_f32_e32 v4, v9, v43
	v_dual_sub_f32 v6, v43, v45 :: v_dual_sub_f32 v7, v42, v44
	s_delay_alu instid0(VALU_DEP_3) | instskip(NEXT) | instid1(VALU_DEP_3)
	v_fma_f32 v8, -0.5, v2, v8
	v_dual_add_f32 v2, v3, v44 :: v_dual_add_f32 v3, v4, v45
	v_add_f32_e32 v4, v43, v45
	s_delay_alu instid0(VALU_DEP_1) | instskip(NEXT) | instid1(VALU_DEP_1)
	v_dual_fmac_f32 v9, -0.5, v4 :: v_dual_fmamk_f32 v4, v6, 0xbf5db3d7, v8
	v_dual_fmac_f32 v8, 0x3f5db3d7, v6 :: v_dual_fmamk_f32 v5, v7, 0x3f5db3d7, v9
	v_fmac_f32_e32 v9, 0xbf5db3d7, v7
	s_wait_loadcnt 0x0
	ds_store_2addr_b64 v18, v[2:3], v[4:5] offset1:9
	v_add_f32_e32 v4, v40, v38
	v_add_f32_e32 v2, v10, v40
	ds_store_b64 v18, v[8:9] offset:144
	v_sub_f32_e32 v8, v41, v39
	v_add_f32_e32 v5, v41, v39
	v_fma_f32 v4, -0.5, v4, v10
	scratch_load_b32 v10, off, off offset:532 th:TH_LOAD_LU ; 4-byte Folded Reload
	v_add_f32_e32 v3, v11, v41
	v_sub_f32_e32 v9, v40, v38
	v_fma_f32 v5, -0.5, v5, v11
	v_fmamk_f32 v6, v8, 0xbf5db3d7, v4
	v_fmac_f32_e32 v4, 0x3f5db3d7, v8
	scratch_load_b32 v8, off, off offset:528 th:TH_LOAD_LU ; 4-byte Folded Reload
	v_dual_add_f32 v2, v2, v38 :: v_dual_add_f32 v3, v3, v39
	v_fmamk_f32 v7, v9, 0x3f5db3d7, v5
	v_fmac_f32_e32 v5, 0xbf5db3d7, v9
	v_sub_f32_e32 v9, v32, v30
	s_wait_loadcnt 0x1
	ds_store_2addr_b64 v10, v[2:3], v[6:7] offset1:9
	ds_store_b64 v10, v[4:5] offset:144
	v_dual_add_f32 v2, v34, v36 :: v_dual_add_f32 v3, v12, v34
	v_add_f32_e32 v4, v13, v35
	v_dual_sub_f32 v6, v35, v37 :: v_dual_sub_f32 v7, v34, v36
	s_delay_alu instid0(VALU_DEP_3) | instskip(NEXT) | instid1(VALU_DEP_3)
	v_fma_f32 v12, -0.5, v2, v12
	v_dual_add_f32 v2, v3, v36 :: v_dual_add_f32 v3, v4, v37
	v_add_f32_e32 v4, v35, v37
	scratch_load_b32 v10, off, off offset:524 th:TH_LOAD_LU ; 4-byte Folded Reload
	v_dual_fmac_f32 v13, -0.5, v4 :: v_dual_fmamk_f32 v4, v6, 0xbf5db3d7, v12
	s_delay_alu instid0(VALU_DEP_1)
	v_dual_fmac_f32 v12, 0x3f5db3d7, v6 :: v_dual_fmamk_f32 v5, v7, 0x3f5db3d7, v13
	v_fmac_f32_e32 v13, 0xbf5db3d7, v7
	s_wait_loadcnt 0x1
	ds_store_2addr_b64 v8, v[2:3], v[4:5] offset1:9
	v_add_f32_e32 v4, v32, v30
	ds_store_b64 v8, v[12:13] offset:144
	v_sub_f32_e32 v8, v33, v31
	v_dual_add_f32 v5, v33, v31 :: v_dual_add_f32 v2, v14, v32
	v_fma_f32 v4, -0.5, v4, v14
	v_add_f32_e32 v3, v15, v33
	s_delay_alu instid0(VALU_DEP_3) | instskip(NEXT) | instid1(VALU_DEP_4)
	v_fma_f32 v5, -0.5, v5, v15
	v_add_f32_e32 v2, v2, v30
	s_delay_alu instid0(VALU_DEP_4)
	v_fmamk_f32 v6, v8, 0xbf5db3d7, v4
	v_fmac_f32_e32 v4, 0x3f5db3d7, v8
	scratch_load_b32 v8, off, off offset:516 th:TH_LOAD_LU ; 4-byte Folded Reload
	v_add_f32_e32 v3, v3, v31
	v_fmamk_f32 v7, v9, 0x3f5db3d7, v5
	v_fmac_f32_e32 v5, 0xbf5db3d7, v9
	s_wait_loadcnt 0x1
	ds_store_2addr_b64 v10, v[2:3], v[6:7] offset1:9
	ds_store_b64 v10, v[4:5] offset:144
	v_dual_add_f32 v2, v26, v28 :: v_dual_add_f32 v3, v16, v26
	v_add_f32_e32 v4, v17, v27
	v_dual_sub_f32 v6, v27, v29 :: v_dual_sub_f32 v7, v26, v28
	s_delay_alu instid0(VALU_DEP_3) | instskip(NEXT) | instid1(VALU_DEP_3)
	v_fma_f32 v16, -0.5, v2, v16
	v_dual_add_f32 v2, v3, v28 :: v_dual_add_f32 v3, v4, v29
	v_add_f32_e32 v4, v27, v29
	s_delay_alu instid0(VALU_DEP_1) | instskip(SKIP_1) | instid1(VALU_DEP_2)
	v_dual_fmac_f32 v17, -0.5, v4 :: v_dual_fmamk_f32 v4, v6, 0xbf5db3d7, v16
	v_fmac_f32_e32 v16, 0x3f5db3d7, v6
	v_dual_sub_f32 v6, v25, v23 :: v_dual_fmamk_f32 v5, v7, 0x3f5db3d7, v17
	v_fmac_f32_e32 v17, 0xbf5db3d7, v7
	v_sub_f32_e32 v7, v24, v22
	s_wait_loadcnt 0x0
	ds_store_2addr_b64 v8, v[2:3], v[4:5] offset1:9
	ds_store_b64 v8, v[16:17] offset:144
	scratch_load_b32 v8, off, off offset:520 th:TH_LOAD_LU ; 4-byte Folded Reload
	v_add_f32_e32 v2, v24, v22
	v_dual_add_f32 v3, v0, v24 :: v_dual_add_f32 v4, v1, v25
	s_delay_alu instid0(VALU_DEP_2) | instskip(NEXT) | instid1(VALU_DEP_2)
	v_fma_f32 v0, -0.5, v2, v0
	v_dual_add_f32 v2, v3, v22 :: v_dual_add_f32 v3, v4, v23
	v_add_f32_e32 v4, v25, v23
	s_delay_alu instid0(VALU_DEP_1) | instskip(NEXT) | instid1(VALU_DEP_1)
	v_dual_fmac_f32 v1, -0.5, v4 :: v_dual_fmamk_f32 v4, v6, 0xbf5db3d7, v0
	v_dual_fmac_f32 v0, 0x3f5db3d7, v6 :: v_dual_fmamk_f32 v5, v7, 0x3f5db3d7, v1
	v_fmac_f32_e32 v1, 0xbf5db3d7, v7
	s_wait_loadcnt 0x0
	ds_store_2addr_b64 v8, v[2:3], v[4:5] offset1:9
	ds_store_b64 v8, v[0:1] offset:144
	global_wb scope:SCOPE_SE
	s_wait_dscnt 0x0
	s_barrier_signal -1
	s_barrier_wait -1
	global_inv scope:SCOPE_SE
	ds_load_b64 v[0:1], v64 offset:50544
	s_wait_dscnt 0x0
	v_mul_f32_e32 v22, v123, v1
	s_delay_alu instid0(VALU_DEP_1) | instskip(SKIP_1) | instid1(VALU_DEP_1)
	v_fmac_f32_e32 v22, v122, v0
	v_mul_f32_e32 v0, v123, v0
	v_fma_f32 v23, v122, v1, -v0
	ds_load_2addr_b64 v[0:3], v70 offset1:243
	s_wait_dscnt 0x0
	v_mul_f32_e32 v24, v121, v3
	v_mul_f32_e32 v26, v117, v1
	s_delay_alu instid0(VALU_DEP_2) | instskip(SKIP_1) | instid1(VALU_DEP_3)
	v_fmac_f32_e32 v24, v120, v2
	v_mul_f32_e32 v2, v121, v2
	v_fmac_f32_e32 v26, v116, v0
	v_mul_f32_e32 v0, v117, v0
	s_delay_alu instid0(VALU_DEP_3) | instskip(NEXT) | instid1(VALU_DEP_2)
	v_fma_f32 v25, v120, v3, -v2
	v_fma_f32 v27, v116, v1, -v0
	ds_load_2addr_b64 v[0:3], v63 offset0:8 offset1:251
	s_wait_dscnt 0x0
	v_mul_f32_e32 v28, v119, v3
	v_mul_f32_e32 v30, v111, v1
	s_delay_alu instid0(VALU_DEP_2) | instskip(SKIP_1) | instid1(VALU_DEP_3)
	v_fmac_f32_e32 v28, v118, v2
	v_mul_f32_e32 v2, v119, v2
	v_fmac_f32_e32 v30, v110, v0
	v_mul_f32_e32 v0, v111, v0
	s_delay_alu instid0(VALU_DEP_3) | instskip(NEXT) | instid1(VALU_DEP_2)
	v_fma_f32 v29, v118, v3, -v2
	v_fma_f32 v31, v110, v1, -v0
	ds_load_2addr_b64 v[0:3], v75 offset0:10 offset1:253
	;; [unrolled: 12-line block ×8, first 2 shown]
	s_wait_dscnt 0x0
	v_mul_f32_e32 v8, v237, v3
	s_delay_alu instid0(VALU_DEP_1) | instskip(SKIP_1) | instid1(VALU_DEP_2)
	v_fmac_f32_e32 v8, v236, v2
	v_mul_f32_e32 v2, v237, v2
	v_sub_f32_e32 v55, v8, v6
	s_delay_alu instid0(VALU_DEP_2) | instskip(SKIP_3) | instid1(VALU_DEP_1)
	v_fma_f32 v9, v236, v3, -v2
	ds_load_2addr_b64 v[2:5], v64 offset1:243
	s_wait_dscnt 0x0
	v_dual_sub_f32 v54, v9, v7 :: v_dual_add_f32 v11, v3, v9
	v_dual_add_f32 v10, v2, v8 :: v_dual_add_f32 v19, v11, v7
	v_add_f32_e32 v7, v9, v7
	v_add_f32_e32 v9, v8, v6
	s_delay_alu instid0(VALU_DEP_3) | instskip(NEXT) | instid1(VALU_DEP_3)
	v_add_f32_e32 v18, v10, v6
	v_fma_f32 v3, -0.5, v7, v3
	s_delay_alu instid0(VALU_DEP_3)
	v_fma_f32 v2, -0.5, v9, v2
	ds_load_2addr_b64 v[6:9], v57 offset0:6 offset1:249
	ds_load_2addr_b64 v[10:13], v73 offset0:12 offset1:255
	;; [unrolled: 1-line block ×3, first 2 shown]
	global_wb scope:SCOPE_SE
	s_wait_dscnt 0x0
	s_barrier_signal -1
	s_barrier_wait -1
	global_inv scope:SCOPE_SE
	scratch_load_b32 v59, off, off offset:544 th:TH_LOAD_LU ; 4-byte Folded Reload
	v_fmamk_f32 v20, v54, 0xbf5db3d7, v2
	v_dual_fmamk_f32 v21, v55, 0x3f5db3d7, v3 :: v_dual_fmac_f32 v2, 0x3f5db3d7, v54
	v_fmac_f32_e32 v3, 0xbf5db3d7, v55
	s_wait_loadcnt 0x0
	ds_store_2addr_b64 v59, v[18:19], v[20:21] offset1:27
	ds_store_b64 v59, v[2:3] offset:432
	v_dual_add_f32 v2, v50, v52 :: v_dual_add_f32 v3, v4, v50
	v_sub_f32_e32 v21, v50, v52
	scratch_load_b32 v50, off, off offset:548 th:TH_LOAD_LU ; 4-byte Folded Reload
	v_add_f32_e32 v18, v5, v51
	v_fma_f32 v4, -0.5, v2, v4
	v_add_f32_e32 v2, v3, v52
	v_sub_f32_e32 v20, v51, v53
	s_delay_alu instid0(VALU_DEP_4) | instskip(SKIP_1) | instid1(VALU_DEP_1)
	v_add_f32_e32 v3, v18, v53
	v_add_f32_e32 v18, v51, v53
	v_dual_fmac_f32 v5, -0.5, v18 :: v_dual_fmamk_f32 v18, v20, 0xbf5db3d7, v4
	v_fmac_f32_e32 v4, 0x3f5db3d7, v20
	scratch_load_b32 v20, off, off offset:552 th:TH_LOAD_LU ; 4-byte Folded Reload
	v_fmamk_f32 v19, v21, 0x3f5db3d7, v5
	v_fmac_f32_e32 v5, 0xbf5db3d7, v21
	s_wait_loadcnt 0x1
	ds_store_b64 v50, v[4:5] offset:432
	v_add_f32_e32 v4, v48, v46
	ds_store_2addr_b64 v50, v[2:3], v[18:19] offset1:27
	v_sub_f32_e32 v18, v49, v47
	v_dual_add_f32 v2, v6, v48 :: v_dual_add_f32 v5, v49, v47
	v_fma_f32 v4, -0.5, v4, v6
	v_add_f32_e32 v3, v7, v49
	v_sub_f32_e32 v19, v48, v46
	s_delay_alu instid0(VALU_DEP_4)
	v_add_f32_e32 v2, v2, v46
	v_fma_f32 v5, -0.5, v5, v7
	v_fmamk_f32 v6, v18, 0xbf5db3d7, v4
	v_fmac_f32_e32 v4, 0x3f5db3d7, v18
	scratch_load_b32 v18, off, off offset:556 th:TH_LOAD_LU ; 4-byte Folded Reload
	v_add_f32_e32 v3, v3, v47
	v_fmamk_f32 v7, v19, 0x3f5db3d7, v5
	v_fmac_f32_e32 v5, 0xbf5db3d7, v19
	s_wait_loadcnt 0x1
	ds_store_2addr_b64 v20, v[2:3], v[6:7] offset1:27
	ds_store_b64 v20, v[4:5] offset:432
	v_dual_add_f32 v2, v42, v44 :: v_dual_add_f32 v3, v8, v42
	v_add_f32_e32 v4, v9, v43
	v_dual_sub_f32 v6, v43, v45 :: v_dual_sub_f32 v7, v42, v44
	s_delay_alu instid0(VALU_DEP_3) | instskip(NEXT) | instid1(VALU_DEP_3)
	v_fma_f32 v8, -0.5, v2, v8
	v_dual_add_f32 v2, v3, v44 :: v_dual_add_f32 v3, v4, v45
	v_add_f32_e32 v4, v43, v45
	s_delay_alu instid0(VALU_DEP_1) | instskip(NEXT) | instid1(VALU_DEP_1)
	v_dual_fmac_f32 v9, -0.5, v4 :: v_dual_fmamk_f32 v4, v6, 0xbf5db3d7, v8
	v_dual_fmac_f32 v8, 0x3f5db3d7, v6 :: v_dual_fmamk_f32 v5, v7, 0x3f5db3d7, v9
	v_fmac_f32_e32 v9, 0xbf5db3d7, v7
	s_wait_loadcnt 0x0
	ds_store_2addr_b64 v18, v[2:3], v[4:5] offset1:27
	v_add_f32_e32 v4, v40, v38
	v_add_f32_e32 v2, v10, v40
	ds_store_b64 v18, v[8:9] offset:432
	v_sub_f32_e32 v8, v41, v39
	v_add_f32_e32 v5, v41, v39
	v_fma_f32 v4, -0.5, v4, v10
	scratch_load_b32 v10, off, off offset:560 th:TH_LOAD_LU ; 4-byte Folded Reload
	v_add_f32_e32 v3, v11, v41
	v_sub_f32_e32 v9, v40, v38
	v_fma_f32 v5, -0.5, v5, v11
	v_fmamk_f32 v6, v8, 0xbf5db3d7, v4
	v_fmac_f32_e32 v4, 0x3f5db3d7, v8
	scratch_load_b32 v8, off, off offset:564 th:TH_LOAD_LU ; 4-byte Folded Reload
	v_dual_add_f32 v2, v2, v38 :: v_dual_add_f32 v3, v3, v39
	v_fmamk_f32 v7, v9, 0x3f5db3d7, v5
	v_fmac_f32_e32 v5, 0xbf5db3d7, v9
	v_sub_f32_e32 v9, v32, v30
	s_wait_loadcnt 0x1
	ds_store_2addr_b64 v10, v[2:3], v[6:7] offset1:27
	ds_store_b64 v10, v[4:5] offset:432
	v_dual_add_f32 v2, v34, v36 :: v_dual_add_f32 v3, v12, v34
	v_add_f32_e32 v4, v13, v35
	v_dual_sub_f32 v6, v35, v37 :: v_dual_sub_f32 v7, v34, v36
	s_delay_alu instid0(VALU_DEP_3) | instskip(NEXT) | instid1(VALU_DEP_3)
	v_fma_f32 v12, -0.5, v2, v12
	v_dual_add_f32 v2, v3, v36 :: v_dual_add_f32 v3, v4, v37
	v_add_f32_e32 v4, v35, v37
	scratch_load_b32 v10, off, off offset:568 th:TH_LOAD_LU ; 4-byte Folded Reload
	v_dual_fmac_f32 v13, -0.5, v4 :: v_dual_fmamk_f32 v4, v6, 0xbf5db3d7, v12
	s_delay_alu instid0(VALU_DEP_1)
	v_dual_fmac_f32 v12, 0x3f5db3d7, v6 :: v_dual_fmamk_f32 v5, v7, 0x3f5db3d7, v13
	v_fmac_f32_e32 v13, 0xbf5db3d7, v7
	s_wait_loadcnt 0x1
	ds_store_2addr_b64 v8, v[2:3], v[4:5] offset1:27
	v_add_f32_e32 v4, v32, v30
	ds_store_b64 v8, v[12:13] offset:432
	v_sub_f32_e32 v8, v33, v31
	v_dual_add_f32 v5, v33, v31 :: v_dual_add_f32 v2, v14, v32
	v_fma_f32 v4, -0.5, v4, v14
	v_add_f32_e32 v3, v15, v33
	s_delay_alu instid0(VALU_DEP_3) | instskip(NEXT) | instid1(VALU_DEP_4)
	v_fma_f32 v5, -0.5, v5, v15
	v_add_f32_e32 v2, v2, v30
	s_delay_alu instid0(VALU_DEP_4)
	v_fmamk_f32 v6, v8, 0xbf5db3d7, v4
	v_fmac_f32_e32 v4, 0x3f5db3d7, v8
	scratch_load_b32 v8, off, off offset:572 th:TH_LOAD_LU ; 4-byte Folded Reload
	v_add_f32_e32 v3, v3, v31
	v_fmamk_f32 v7, v9, 0x3f5db3d7, v5
	v_fmac_f32_e32 v5, 0xbf5db3d7, v9
	s_wait_loadcnt 0x1
	ds_store_2addr_b64 v10, v[2:3], v[6:7] offset1:27
	ds_store_b64 v10, v[4:5] offset:432
	v_dual_add_f32 v2, v26, v28 :: v_dual_add_f32 v5, v27, v29
	v_add_f32_e32 v4, v16, v26
	v_dual_sub_f32 v6, v27, v29 :: v_dual_sub_f32 v7, v26, v28
	s_delay_alu instid0(VALU_DEP_3) | instskip(NEXT) | instid1(VALU_DEP_4)
	v_fma_f32 v16, -0.5, v2, v16
	v_dual_add_f32 v2, v17, v27 :: v_dual_fmac_f32 v17, -0.5, v5
	s_delay_alu instid0(VALU_DEP_1) | instskip(NEXT) | instid1(VALU_DEP_3)
	v_dual_add_f32 v3, v2, v29 :: v_dual_add_f32 v2, v4, v28
	v_fmamk_f32 v4, v6, 0xbf5db3d7, v16
	s_delay_alu instid0(VALU_DEP_3)
	v_dual_fmamk_f32 v5, v7, 0x3f5db3d7, v17 :: v_dual_fmac_f32 v16, 0x3f5db3d7, v6
	v_fmac_f32_e32 v17, 0xbf5db3d7, v7
	v_dual_sub_f32 v6, v25, v23 :: v_dual_sub_f32 v7, v24, v22
	s_wait_loadcnt 0x0
	ds_store_2addr_b64 v8, v[2:3], v[4:5] offset1:27
	ds_store_b64 v8, v[16:17] offset:432
	scratch_load_b32 v8, off, off offset:580 th:TH_LOAD_LU ; 4-byte Folded Reload
	v_add_f32_e32 v2, v24, v22
	v_dual_add_f32 v4, v0, v24 :: v_dual_add_f32 v3, v1, v25
	s_delay_alu instid0(VALU_DEP_2) | instskip(SKIP_1) | instid1(VALU_DEP_3)
	v_fma_f32 v0, -0.5, v2, v0
	v_add_f32_e32 v2, v25, v23
	v_add_f32_e32 v3, v3, v23
	s_delay_alu instid0(VALU_DEP_2) | instskip(SKIP_2) | instid1(VALU_DEP_3)
	v_fmac_f32_e32 v1, -0.5, v2
	v_add_f32_e32 v2, v4, v22
	v_fmamk_f32 v4, v6, 0xbf5db3d7, v0
	v_dual_fmac_f32 v0, 0x3f5db3d7, v6 :: v_dual_fmamk_f32 v5, v7, 0x3f5db3d7, v1
	v_fmac_f32_e32 v1, 0xbf5db3d7, v7
	s_wait_loadcnt 0x0
	ds_store_2addr_b64 v8, v[2:3], v[4:5] offset1:27
	ds_store_b64 v8, v[0:1] offset:432
	global_wb scope:SCOPE_SE
	s_wait_dscnt 0x0
	s_barrier_signal -1
	s_barrier_wait -1
	global_inv scope:SCOPE_SE
	ds_load_b64 v[1:2], v64 offset:50544
	ds_load_2addr_b64 v[4:7], v70 offset1:243
	s_wait_dscnt 0x1
	v_mul_f32_e32 v0, v159, v2
	s_wait_dscnt 0x0
	v_mul_f32_e32 v26, v145, v5
	s_delay_alu instid0(VALU_DEP_2) | instskip(NEXT) | instid1(VALU_DEP_2)
	v_dual_mul_f32 v3, v157, v6 :: v_dual_fmac_f32 v0, v158, v1
	v_dual_mul_f32 v1, v159, v1 :: v_dual_fmac_f32 v26, v144, v4
	v_mul_f32_e32 v4, v145, v4
	s_delay_alu instid0(VALU_DEP_3) | instskip(NEXT) | instid1(VALU_DEP_3)
	v_fma_f32 v3, v156, v7, -v3
	v_fma_f32 v2, v158, v2, -v1
	v_mul_f32_e32 v1, v157, v7
	s_delay_alu instid0(VALU_DEP_4) | instskip(NEXT) | instid1(VALU_DEP_2)
	v_fma_f32 v27, v144, v5, -v4
	v_fmac_f32_e32 v1, v156, v6
	ds_load_2addr_b64 v[4:7], v63 offset0:8 offset1:251
	s_wait_dscnt 0x0
	v_mul_f32_e32 v28, v147, v7
	v_mul_f32_e32 v30, v143, v5
	s_delay_alu instid0(VALU_DEP_2) | instskip(SKIP_1) | instid1(VALU_DEP_3)
	v_fmac_f32_e32 v28, v146, v6
	v_mul_f32_e32 v6, v147, v6
	v_fmac_f32_e32 v30, v142, v4
	v_mul_f32_e32 v4, v143, v4
	s_delay_alu instid0(VALU_DEP_3) | instskip(NEXT) | instid1(VALU_DEP_2)
	v_fma_f32 v29, v146, v7, -v6
	v_fma_f32 v31, v142, v5, -v4
	ds_load_2addr_b64 v[4:7], v75 offset0:10 offset1:253
	s_wait_dscnt 0x0
	v_mul_f32_e32 v32, v141, v7
	v_mul_f32_e32 v34, v129, v5
	s_delay_alu instid0(VALU_DEP_2) | instskip(SKIP_1) | instid1(VALU_DEP_3)
	v_fmac_f32_e32 v32, v140, v6
	v_mul_f32_e32 v6, v141, v6
	v_fmac_f32_e32 v34, v128, v4
	v_mul_f32_e32 v4, v129, v4
	s_delay_alu instid0(VALU_DEP_3) | instskip(NEXT) | instid1(VALU_DEP_2)
	v_fma_f32 v33, v140, v7, -v6
	v_fma_f32 v35, v128, v5, -v4
	;; [unrolled: 12-line block ×7, first 2 shown]
	ds_load_2addr_b64 v[4:7], v66 offset0:8 offset1:251
	s_wait_dscnt 0x0
	v_mul_f32_e32 v12, v97, v7
	s_delay_alu instid0(VALU_DEP_1) | instskip(SKIP_1) | instid1(VALU_DEP_2)
	v_fmac_f32_e32 v12, v96, v6
	v_mul_f32_e32 v6, v97, v6
	v_sub_f32_e32 v55, v12, v10
	s_delay_alu instid0(VALU_DEP_2)
	v_fma_f32 v13, v96, v7, -v6
	ds_load_2addr_b64 v[6:9], v64 offset1:243
	v_add_f32_e32 v15, v13, v11
	v_sub_f32_e32 v54, v13, v11
	s_wait_dscnt 0x0
	v_add_f32_e32 v14, v7, v13
	s_delay_alu instid0(VALU_DEP_3) | instskip(NEXT) | instid1(VALU_DEP_2)
	v_fma_f32 v7, -0.5, v15, v7
	v_add_f32_e32 v23, v14, v11
	v_add_f32_e32 v11, v6, v12
	s_delay_alu instid0(VALU_DEP_3) | instskip(NEXT) | instid1(VALU_DEP_2)
	v_fmamk_f32 v25, v55, 0x3f5db3d7, v7
	v_dual_fmac_f32 v7, 0xbf5db3d7, v55 :: v_dual_add_f32 v22, v11, v10
	v_add_f32_e32 v11, v12, v10
	s_delay_alu instid0(VALU_DEP_1)
	v_fma_f32 v6, -0.5, v11, v6
	ds_load_2addr_b64 v[10:13], v57 offset0:6 offset1:249
	ds_load_2addr_b64 v[14:17], v73 offset0:12 offset1:255
	;; [unrolled: 1-line block ×3, first 2 shown]
	global_wb scope:SCOPE_SE
	s_wait_dscnt 0x0
	s_barrier_signal -1
	s_barrier_wait -1
	global_inv scope:SCOPE_SE
	scratch_load_b32 v59, off, off offset:612 th:TH_LOAD_LU ; 4-byte Folded Reload
	v_fmamk_f32 v24, v54, 0xbf5db3d7, v6
	v_fmac_f32_e32 v6, 0x3f5db3d7, v54
	s_wait_loadcnt 0x0
	ds_store_2addr_b64 v59, v[22:23], v[24:25] offset1:81
	ds_store_b64 v59, v[6:7] offset:1296
	v_add_f32_e32 v6, v50, v52
	v_dual_add_f32 v22, v8, v50 :: v_dual_sub_f32 v25, v50, v52
	scratch_load_b32 v50, off, off offset:576 th:TH_LOAD_LU ; 4-byte Folded Reload
	v_add_f32_e32 v7, v9, v51
	v_fma_f32 v8, -0.5, v6, v8
	v_add_f32_e32 v6, v51, v53
	v_sub_f32_e32 v24, v51, v53
	s_delay_alu instid0(VALU_DEP_4) | instskip(NEXT) | instid1(VALU_DEP_3)
	v_add_f32_e32 v7, v7, v53
	v_dual_fmac_f32 v9, -0.5, v6 :: v_dual_add_f32 v6, v22, v52
	s_delay_alu instid0(VALU_DEP_3)
	v_fmamk_f32 v22, v24, 0xbf5db3d7, v8
	v_fmac_f32_e32 v8, 0x3f5db3d7, v24
	scratch_load_b32 v24, off, off offset:584 th:TH_LOAD_LU ; 4-byte Folded Reload
	v_fmamk_f32 v23, v25, 0x3f5db3d7, v9
	v_fmac_f32_e32 v9, 0xbf5db3d7, v25
	s_wait_loadcnt 0x1
	ds_store_b64 v50, v[8:9] offset:1296
	v_add_f32_e32 v8, v48, v46
	ds_store_2addr_b64 v50, v[6:7], v[22:23] offset1:81
	v_add_f32_e32 v6, v11, v49
	v_sub_f32_e32 v22, v49, v47
	v_add_f32_e32 v9, v49, v47
	v_fma_f32 v8, -0.5, v8, v10
	v_sub_f32_e32 v23, v48, v46
	v_add_f32_e32 v7, v6, v47
	v_add_f32_e32 v6, v10, v48
	v_fma_f32 v9, -0.5, v9, v11
	v_fmamk_f32 v10, v22, 0xbf5db3d7, v8
	v_fmac_f32_e32 v8, 0x3f5db3d7, v22
	scratch_load_b32 v22, off, off offset:588 th:TH_LOAD_LU ; 4-byte Folded Reload
	v_dual_add_f32 v6, v6, v46 :: v_dual_fmamk_f32 v11, v23, 0x3f5db3d7, v9
	v_fmac_f32_e32 v9, 0xbf5db3d7, v23
	s_wait_loadcnt 0x1
	ds_store_2addr_b64 v24, v[6:7], v[10:11] offset1:81
	ds_store_b64 v24, v[8:9] offset:1296
	v_dual_add_f32 v6, v42, v44 :: v_dual_add_f32 v9, v43, v45
	v_add_f32_e32 v8, v12, v42
	v_dual_sub_f32 v10, v43, v45 :: v_dual_sub_f32 v11, v42, v44
	s_delay_alu instid0(VALU_DEP_3) | instskip(NEXT) | instid1(VALU_DEP_4)
	v_fma_f32 v12, -0.5, v6, v12
	v_dual_add_f32 v6, v13, v43 :: v_dual_fmac_f32 v13, -0.5, v9
	s_delay_alu instid0(VALU_DEP_1) | instskip(NEXT) | instid1(VALU_DEP_3)
	v_dual_add_f32 v7, v6, v45 :: v_dual_add_f32 v6, v8, v44
	v_fmamk_f32 v8, v10, 0xbf5db3d7, v12
	s_delay_alu instid0(VALU_DEP_3)
	v_dual_fmamk_f32 v9, v11, 0x3f5db3d7, v13 :: v_dual_fmac_f32 v12, 0x3f5db3d7, v10
	v_fmac_f32_e32 v13, 0xbf5db3d7, v11
	s_wait_loadcnt 0x0
	ds_store_2addr_b64 v22, v[6:7], v[8:9] offset1:81
	v_add_f32_e32 v8, v40, v38
	v_add_f32_e32 v6, v14, v40
	ds_store_b64 v22, v[12:13] offset:1296
	v_sub_f32_e32 v12, v41, v39
	v_add_f32_e32 v9, v41, v39
	v_fma_f32 v8, -0.5, v8, v14
	scratch_load_b32 v14, off, off offset:592 th:TH_LOAD_LU ; 4-byte Folded Reload
	v_add_f32_e32 v7, v15, v41
	v_sub_f32_e32 v13, v40, v38
	v_fma_f32 v9, -0.5, v9, v15
	v_fmamk_f32 v10, v12, 0xbf5db3d7, v8
	v_fmac_f32_e32 v8, 0x3f5db3d7, v12
	scratch_load_b32 v12, off, off offset:596 th:TH_LOAD_LU ; 4-byte Folded Reload
	v_dual_add_f32 v6, v6, v38 :: v_dual_add_f32 v7, v7, v39
	v_fmamk_f32 v11, v13, 0x3f5db3d7, v9
	v_fmac_f32_e32 v9, 0xbf5db3d7, v13
	v_sub_f32_e32 v13, v32, v30
	s_wait_loadcnt 0x1
	ds_store_2addr_b64 v14, v[6:7], v[10:11] offset1:81
	ds_store_b64 v14, v[8:9] offset:1296
	v_dual_add_f32 v6, v34, v36 :: v_dual_add_f32 v9, v35, v37
	v_add_f32_e32 v8, v16, v34
	v_dual_sub_f32 v10, v35, v37 :: v_dual_sub_f32 v11, v34, v36
	s_delay_alu instid0(VALU_DEP_3) | instskip(NEXT) | instid1(VALU_DEP_4)
	v_fma_f32 v16, -0.5, v6, v16
	v_dual_add_f32 v6, v17, v35 :: v_dual_fmac_f32 v17, -0.5, v9
	scratch_load_b32 v14, off, off offset:600 th:TH_LOAD_LU ; 4-byte Folded Reload
	v_dual_add_f32 v7, v6, v37 :: v_dual_add_f32 v6, v8, v36
	v_fmamk_f32 v8, v10, 0xbf5db3d7, v16
	v_dual_fmamk_f32 v9, v11, 0x3f5db3d7, v17 :: v_dual_fmac_f32 v16, 0x3f5db3d7, v10
	v_fmac_f32_e32 v17, 0xbf5db3d7, v11
	s_wait_loadcnt 0x1
	ds_store_2addr_b64 v12, v[6:7], v[8:9] offset1:81
	v_add_f32_e32 v8, v32, v30
	ds_store_b64 v12, v[16:17] offset:1296
	v_sub_f32_e32 v12, v33, v31
	v_dual_add_f32 v9, v33, v31 :: v_dual_add_f32 v6, v18, v32
	v_fma_f32 v8, -0.5, v8, v18
	v_add_f32_e32 v7, v19, v33
	s_delay_alu instid0(VALU_DEP_3) | instskip(NEXT) | instid1(VALU_DEP_4)
	v_fma_f32 v9, -0.5, v9, v19
	v_add_f32_e32 v6, v6, v30
	s_delay_alu instid0(VALU_DEP_4)
	v_fmamk_f32 v10, v12, 0xbf5db3d7, v8
	v_fmac_f32_e32 v8, 0x3f5db3d7, v12
	scratch_load_b32 v12, off, off offset:604 th:TH_LOAD_LU ; 4-byte Folded Reload
	v_add_f32_e32 v7, v7, v31
	v_fmamk_f32 v11, v13, 0x3f5db3d7, v9
	v_fmac_f32_e32 v9, 0xbf5db3d7, v13
	s_wait_loadcnt 0x1
	ds_store_2addr_b64 v14, v[6:7], v[10:11] offset1:81
	ds_store_b64 v14, v[8:9] offset:1296
	v_dual_add_f32 v6, v26, v28 :: v_dual_add_f32 v9, v27, v29
	v_add_f32_e32 v8, v20, v26
	v_dual_sub_f32 v10, v27, v29 :: v_dual_sub_f32 v11, v26, v28
	s_delay_alu instid0(VALU_DEP_3) | instskip(NEXT) | instid1(VALU_DEP_4)
	v_fma_f32 v20, -0.5, v6, v20
	v_dual_add_f32 v6, v21, v27 :: v_dual_fmac_f32 v21, -0.5, v9
	s_delay_alu instid0(VALU_DEP_1) | instskip(NEXT) | instid1(VALU_DEP_3)
	v_dual_add_f32 v7, v6, v29 :: v_dual_add_f32 v6, v8, v28
	v_fmamk_f32 v8, v10, 0xbf5db3d7, v20
	s_delay_alu instid0(VALU_DEP_3)
	v_dual_fmamk_f32 v9, v11, 0x3f5db3d7, v21 :: v_dual_fmac_f32 v20, 0x3f5db3d7, v10
	v_fmac_f32_e32 v21, 0xbf5db3d7, v11
	s_wait_loadcnt 0x0
	ds_store_2addr_b64 v12, v[6:7], v[8:9] offset1:81
	v_dual_add_f32 v6, v1, v0 :: v_dual_add_f32 v7, v4, v1
	v_add_f32_e32 v8, v5, v3
	ds_store_b64 v12, v[20:21] offset:1296
	v_fma_f32 v4, -0.5, v6, v4
	v_dual_add_f32 v6, v7, v0 :: v_dual_add_f32 v7, v8, v2
	v_add_f32_e32 v8, v3, v2
	v_dual_sub_f32 v2, v3, v2 :: v_dual_sub_f32 v3, v1, v0
	s_delay_alu instid0(VALU_DEP_2)
	v_fmac_f32_e32 v5, -0.5, v8
	scratch_load_b32 v8, off, off offset:608 th:TH_LOAD_LU ; 4-byte Folded Reload
	v_fmamk_f32 v0, v2, 0xbf5db3d7, v4
	v_dual_fmac_f32 v4, 0x3f5db3d7, v2 :: v_dual_fmamk_f32 v1, v3, 0x3f5db3d7, v5
	v_fmac_f32_e32 v5, 0xbf5db3d7, v3
	s_wait_loadcnt 0x0
	ds_store_2addr_b64 v8, v[6:7], v[0:1] offset1:81
	ds_store_b64 v8, v[4:5] offset:1296
	global_wb scope:SCOPE_SE
	s_wait_dscnt 0x0
	s_barrier_signal -1
	s_barrier_wait -1
	global_inv scope:SCOPE_SE
	ds_load_b64 v[1:2], v64 offset:50544
	ds_load_2addr_b64 v[5:8], v70 offset1:243
	ds_load_2addr_b64 v[13:16], v64 offset1:243
	s_wait_dscnt 0x1
	v_dual_mul_f32 v0, v187, v2 :: v_dual_mul_f32 v3, v185, v7
	v_mul_f32_e32 v4, v181, v6
	s_delay_alu instid0(VALU_DEP_2) | instskip(SKIP_1) | instid1(VALU_DEP_4)
	v_fmac_f32_e32 v0, v186, v1
	v_mul_f32_e32 v1, v187, v1
	v_fma_f32 v3, v184, v8, -v3
	s_delay_alu instid0(VALU_DEP_4) | instskip(SKIP_1) | instid1(VALU_DEP_4)
	v_fmac_f32_e32 v4, v180, v5
	v_mul_f32_e32 v5, v181, v5
	v_fma_f32 v2, v186, v2, -v1
	v_mul_f32_e32 v1, v185, v8
	ds_load_2addr_b64 v[8:11], v63 offset0:8 offset1:251
	v_fma_f32 v6, v180, v6, -v5
	s_wait_dscnt 0x0
	v_dual_fmac_f32 v1, v184, v7 :: v_dual_mul_f32 v12, v179, v9
	v_mul_f32_e32 v5, v183, v11
	s_delay_alu instid0(VALU_DEP_2) | instskip(NEXT) | instid1(VALU_DEP_2)
	v_dual_mul_f32 v7, v183, v10 :: v_dual_fmac_f32 v12, v178, v8
	v_dual_mul_f32 v8, v179, v8 :: v_dual_fmac_f32 v5, v182, v10
	s_delay_alu instid0(VALU_DEP_2) | instskip(NEXT) | instid1(VALU_DEP_2)
	v_fma_f32 v7, v182, v11, -v7
	v_fma_f32 v31, v178, v9, -v8
	ds_load_2addr_b64 v[8:11], v75 offset0:10 offset1:253
	s_wait_dscnt 0x0
	v_mul_f32_e32 v32, v177, v11
	v_mul_f32_e32 v34, v173, v9
	s_delay_alu instid0(VALU_DEP_2) | instskip(SKIP_1) | instid1(VALU_DEP_3)
	v_fmac_f32_e32 v32, v176, v10
	v_mul_f32_e32 v10, v177, v10
	v_fmac_f32_e32 v34, v172, v8
	v_mul_f32_e32 v8, v173, v8
	s_delay_alu instid0(VALU_DEP_3) | instskip(NEXT) | instid1(VALU_DEP_2)
	v_fma_f32 v33, v176, v11, -v10
	v_fma_f32 v35, v172, v9, -v8
	ds_load_2addr_b64 v[8:11], v62 offset0:2 offset1:245
	s_wait_dscnt 0x0
	v_mul_f32_e32 v36, v175, v11
	v_mul_f32_e32 v38, v171, v9
	s_delay_alu instid0(VALU_DEP_2) | instskip(SKIP_1) | instid1(VALU_DEP_3)
	v_fmac_f32_e32 v36, v174, v10
	v_mul_f32_e32 v10, v175, v10
	v_fmac_f32_e32 v38, v170, v8
	v_mul_f32_e32 v8, v171, v8
	s_delay_alu instid0(VALU_DEP_3) | instskip(NEXT) | instid1(VALU_DEP_2)
	;; [unrolled: 12-line block ×5, first 2 shown]
	v_fma_f32 v49, v152, v11, -v10
	v_fma_f32 v51, v148, v9, -v8
	ds_load_2addr_b64 v[8:11], v67 offset0:6 offset1:249
	s_wait_dscnt 0x0
	v_mul_f32_e32 v17, v151, v9
	s_delay_alu instid0(VALU_DEP_1) | instskip(SKIP_1) | instid1(VALU_DEP_2)
	v_dual_mul_f32 v52, v151, v11 :: v_dual_fmac_f32 v17, v150, v8
	v_mul_f32_e32 v8, v151, v8
	v_fmac_f32_e32 v52, v150, v10
	s_delay_alu instid0(VALU_DEP_2) | instskip(SKIP_1) | instid1(VALU_DEP_1)
	v_fma_f32 v18, v150, v9, -v8
	v_mul_f32_e32 v8, v151, v10
	v_fma_f32 v53, v150, v11, -v8
	ds_load_2addr_b64 v[8:11], v66 offset0:8 offset1:251
	s_wait_dscnt 0x0
	v_mul_f32_e32 v19, v149, v11
	s_delay_alu instid0(VALU_DEP_1) | instskip(NEXT) | instid1(VALU_DEP_1)
	v_fmac_f32_e32 v19, v148, v10
	v_dual_mul_f32 v10, v149, v10 :: v_dual_sub_f32 v55, v19, v17
	s_delay_alu instid0(VALU_DEP_1) | instskip(NEXT) | instid1(VALU_DEP_1)
	v_fma_f32 v10, v148, v11, -v10
	v_add_f32_e32 v11, v14, v10
	v_add_f32_e32 v20, v10, v18
	v_sub_f32_e32 v54, v10, v18
	s_delay_alu instid0(VALU_DEP_3) | instskip(SKIP_1) | instid1(VALU_DEP_4)
	v_dual_add_f32 v10, v13, v19 :: v_dual_add_f32 v11, v11, v18
	v_add_f32_e32 v18, v19, v17
	v_fma_f32 v14, -0.5, v20, v14
	s_delay_alu instid0(VALU_DEP_3) | instskip(NEXT) | instid1(VALU_DEP_3)
	v_add_f32_e32 v10, v10, v17
	v_fma_f32 v13, -0.5, v18, v13
	s_delay_alu instid0(VALU_DEP_3)
	v_fmamk_f32 v30, v55, 0x3f5db3d7, v14
	ds_load_2addr_b64 v[17:20], v57 offset0:6 offset1:249
	ds_load_2addr_b64 v[21:24], v73 offset0:12 offset1:255
	;; [unrolled: 1-line block ×3, first 2 shown]
	global_wb scope:SCOPE_SE
	s_wait_dscnt 0x0
	s_barrier_signal -1
	v_fmamk_f32 v29, v54, 0xbf5db3d7, v13
	s_barrier_wait -1
	global_inv scope:SCOPE_SE
	v_fmac_f32_e32 v13, 0x3f5db3d7, v54
	v_fmac_f32_e32 v14, 0xbf5db3d7, v55
	ds_store_2addr_b64 v64, v[10:11], v[29:30] offset1:243
	v_dual_add_f32 v10, v15, v50 :: v_dual_add_f32 v11, v16, v51
	v_dual_sub_f32 v29, v49, v47 :: v_dual_sub_f32 v30, v48, v46
	s_delay_alu instid0(VALU_DEP_2) | instskip(SKIP_3) | instid1(VALU_DEP_2)
	v_dual_add_f32 v10, v10, v52 :: v_dual_add_f32 v11, v11, v53
	ds_store_2addr_b64 v57, v[13:14], v[10:11] offset0:6 offset1:249
	v_dual_add_f32 v10, v50, v52 :: v_dual_sub_f32 v11, v51, v53
	v_dual_sub_f32 v13, v50, v52 :: v_dual_add_f32 v14, v49, v47
	v_fma_f32 v15, -0.5, v10, v15
	v_add_f32_e32 v10, v51, v53
	s_delay_alu instid0(VALU_DEP_3) | instskip(NEXT) | instid1(VALU_DEP_2)
	v_fma_f32 v14, -0.5, v14, v18
	v_fmac_f32_e32 v16, -0.5, v10
	s_delay_alu instid0(VALU_DEP_4) | instskip(SKIP_1) | instid1(VALU_DEP_3)
	v_fmamk_f32 v10, v11, 0xbf5db3d7, v15
	v_fmac_f32_e32 v15, 0x3f5db3d7, v11
	v_fmamk_f32 v11, v13, 0x3f5db3d7, v16
	v_dual_fmac_f32 v16, 0xbf5db3d7, v13 :: v_dual_add_f32 v13, v48, v46
	ds_store_2addr_b64 v73, v[10:11], v[15:16] offset0:12 offset1:255
	v_add_f32_e32 v10, v18, v49
	v_fma_f32 v13, -0.5, v13, v17
	v_fmamk_f32 v16, v30, 0x3f5db3d7, v14
	s_delay_alu instid0(VALU_DEP_3)
	v_dual_fmac_f32 v14, 0xbf5db3d7, v30 :: v_dual_add_f32 v11, v10, v47
	v_add_f32_e32 v10, v17, v48
	scratch_load_b32 v17, off, off offset:616 th:TH_LOAD_LU ; 4-byte Folded Reload
	v_fmamk_f32 v15, v29, 0xbf5db3d7, v13
	v_dual_fmac_f32 v13, 0x3f5db3d7, v29 :: v_dual_add_f32 v10, v10, v46
	s_wait_loadcnt 0x0
	ds_store_2addr_b64 v17, v[10:11], v[15:16] offset0:2 offset1:245
	scratch_load_b32 v17, off, off offset:620 th:TH_LOAD_LU ; 4-byte Folded Reload
	v_add_f32_e32 v10, v42, v44
	v_add_f32_e32 v16, v43, v45
	v_dual_add_f32 v15, v19, v42 :: v_dual_sub_f32 v42, v42, v44
	s_delay_alu instid0(VALU_DEP_3) | instskip(SKIP_1) | instid1(VALU_DEP_1)
	v_fma_f32 v19, -0.5, v10, v19
	v_dual_add_f32 v10, v20, v43 :: v_dual_sub_f32 v43, v43, v45
	v_dual_fmac_f32 v20, -0.5, v16 :: v_dual_add_f32 v11, v10, v45
	s_delay_alu instid0(VALU_DEP_4) | instskip(NEXT) | instid1(VALU_DEP_3)
	v_add_f32_e32 v10, v15, v44
	v_fmamk_f32 v15, v43, 0xbf5db3d7, v19
	s_delay_alu instid0(VALU_DEP_3)
	v_dual_fmamk_f32 v16, v42, 0x3f5db3d7, v20 :: v_dual_fmac_f32 v19, 0x3f5db3d7, v43
	v_fmac_f32_e32 v20, 0xbf5db3d7, v42
	s_wait_loadcnt 0x0
	ds_store_2addr_b64 v17, v[10:11], v[15:16] offset0:11 offset1:254
	v_add_f32_e32 v16, v41, v39
	v_dual_add_f32 v10, v22, v41 :: v_dual_add_f32 v15, v40, v38
	v_sub_f32_e32 v41, v41, v39
	s_delay_alu instid0(VALU_DEP_3) | instskip(SKIP_4) | instid1(VALU_DEP_2)
	v_fma_f32 v16, -0.5, v16, v22
	scratch_load_b32 v22, off, off offset:624 th:TH_LOAD_LU ; 4-byte Folded Reload
	v_dual_add_f32 v11, v10, v39 :: v_dual_add_f32 v10, v21, v40
	v_fma_f32 v15, -0.5, v15, v21
	v_sub_f32_e32 v21, v40, v38
	v_dual_add_f32 v10, v10, v38 :: v_dual_fmamk_f32 v17, v41, 0xbf5db3d7, v15
	s_delay_alu instid0(VALU_DEP_2)
	v_dual_fmamk_f32 v18, v21, 0x3f5db3d7, v16 :: v_dual_fmac_f32 v15, 0x3f5db3d7, v41
	v_dual_fmac_f32 v16, 0xbf5db3d7, v21 :: v_dual_sub_f32 v21, v33, v31
	s_wait_loadcnt 0x0
	ds_store_2addr_b64 v22, v[10:11], v[17:18] offset0:4 offset1:247
	v_dual_add_f32 v10, v34, v36 :: v_dual_add_f32 v17, v23, v34
	v_add_f32_e32 v18, v35, v37
	v_sub_f32_e32 v22, v35, v37
	v_sub_f32_e32 v34, v34, v36
	s_delay_alu instid0(VALU_DEP_4) | instskip(SKIP_4) | instid1(VALU_DEP_2)
	v_fma_f32 v23, -0.5, v10, v23
	v_add_f32_e32 v10, v24, v35
	scratch_load_b32 v35, off, off offset:628 th:TH_LOAD_LU ; 4-byte Folded Reload
	v_dual_fmac_f32 v24, -0.5, v18 :: v_dual_add_f32 v11, v10, v37
	v_dual_add_f32 v10, v17, v36 :: v_dual_fmamk_f32 v17, v22, 0xbf5db3d7, v23
	v_dual_fmamk_f32 v18, v34, 0x3f5db3d7, v24 :: v_dual_fmac_f32 v23, 0x3f5db3d7, v22
	scratch_load_b32 v22, off, off offset:640 th:TH_LOAD_LU ; 4-byte Folded Reload
	v_fmac_f32_e32 v24, 0xbf5db3d7, v34
	s_wait_loadcnt 0x1
	ds_store_2addr_b64 v35, v[10:11], v[17:18] offset0:5 offset1:248
	scratch_load_b32 v10, off, off offset:632 th:TH_LOAD_LU ; 4-byte Folded Reload
	v_dual_add_f32 v18, v33, v31 :: v_dual_add_f32 v17, v32, v12
	s_delay_alu instid0(VALU_DEP_1) | instskip(NEXT) | instid1(VALU_DEP_2)
	v_fma_f32 v18, -0.5, v18, v26
	v_fma_f32 v17, -0.5, v17, v25
	s_wait_loadcnt 0x0
	ds_store_b64 v10, v[19:20] offset:21384
	scratch_load_b32 v10, off, off offset:636 th:TH_LOAD_LU ; 4-byte Folded Reload
	v_fmamk_f32 v19, v21, 0xbf5db3d7, v17
	v_fmac_f32_e32 v17, 0x3f5db3d7, v21
	s_wait_loadcnt 0x0
	ds_store_b64 v10, v[23:24] offset:33048
	v_add_f32_e32 v10, v26, v33
	s_delay_alu instid0(VALU_DEP_1) | instskip(NEXT) | instid1(VALU_DEP_1)
	v_dual_add_f32 v11, v10, v31 :: v_dual_add_f32 v10, v25, v32
	v_add_f32_e32 v10, v10, v12
	v_sub_f32_e32 v12, v32, v12
	s_delay_alu instid0(VALU_DEP_1)
	v_fmamk_f32 v20, v12, 0x3f5db3d7, v18
	v_fmac_f32_e32 v18, 0xbf5db3d7, v12
	ds_store_2addr_b64 v22, v[10:11], v[19:20] offset0:6 offset1:249
	v_dual_add_f32 v10, v4, v5 :: v_dual_add_f32 v11, v27, v4
	v_add_f32_e32 v19, v6, v7
	v_sub_f32_e32 v20, v6, v7
	s_delay_alu instid0(VALU_DEP_3)
	v_fma_f32 v27, -0.5, v10, v27
	v_add_f32_e32 v10, v28, v6
	v_add_f32_e32 v6, v11, v5
	scratch_load_b32 v11, off, off offset:644 th:TH_LOAD_LU ; 4-byte Folded Reload
	v_fmac_f32_e32 v28, -0.5, v19
	v_dual_add_f32 v7, v10, v7 :: v_dual_sub_f32 v10, v4, v5
	v_fmamk_f32 v4, v20, 0xbf5db3d7, v27
	v_fmac_f32_e32 v27, 0x3f5db3d7, v20
	s_delay_alu instid0(VALU_DEP_3)
	v_fmamk_f32 v5, v10, 0x3f5db3d7, v28
	v_fmac_f32_e32 v28, 0xbf5db3d7, v10
	s_wait_loadcnt 0x0
	ds_store_2addr_b64 v11, v[6:7], v[4:5] offset0:7 offset1:250
	v_dual_add_f32 v4, v1, v0 :: v_dual_add_f32 v5, v8, v1
	v_add_f32_e32 v6, v9, v3
	s_delay_alu instid0(VALU_DEP_2) | instskip(SKIP_1) | instid1(VALU_DEP_1)
	v_fma_f32 v8, -0.5, v4, v8
	v_add_f32_e32 v4, v3, v2
	v_dual_fmac_f32 v9, -0.5, v4 :: v_dual_sub_f32 v4, v3, v2
	s_delay_alu instid0(VALU_DEP_4) | instskip(SKIP_3) | instid1(VALU_DEP_1)
	v_add_f32_e32 v3, v6, v2
	scratch_load_b32 v6, off, off offset:668 th:TH_LOAD_LU ; 4-byte Folded Reload
	v_add_f32_e32 v2, v5, v0
	v_dual_sub_f32 v5, v1, v0 :: v_dual_fmamk_f32 v0, v4, 0xbf5db3d7, v8
	v_dual_fmac_f32 v8, 0x3f5db3d7, v4 :: v_dual_fmamk_f32 v1, v5, 0x3f5db3d7, v9
	v_fmac_f32_e32 v9, 0xbf5db3d7, v5
	s_wait_loadcnt 0x0
	ds_store_2addr_b64 v6, v[2:3], v[0:1] offset0:8 offset1:251
	scratch_load_b32 v0, off, off offset:660 th:TH_LOAD_LU ; 4-byte Folded Reload
	s_wait_loadcnt 0x0
	ds_store_b64 v0, v[27:28] offset:44712
	scratch_load_b32 v0, off, off offset:664 th:TH_LOAD_LU ; 4-byte Folded Reload
	s_wait_loadcnt 0x0
	ds_store_b64 v0, v[8:9] offset:50544
	;; [unrolled: 3-line block ×5, first 2 shown]
	global_wb scope:SCOPE_SE
	s_wait_dscnt 0x0
	s_barrier_signal -1
	s_barrier_wait -1
	global_inv scope:SCOPE_SE
	ds_load_2addr_b64 v[0:3], v67 offset0:6 offset1:249
	ds_load_2addr_b64 v[5:8], v70 offset1:243
	ds_load_2addr_b64 v[11:14], v62 offset0:2 offset1:245
	s_wait_dscnt 0x2
	v_mul_f32_e32 v15, v135, v1
	s_wait_dscnt 0x1
	v_dual_mul_f32 v29, v139, v3 :: v_dual_mul_f32 v4, v225, v6
	s_wait_dscnt 0x0
	v_mul_f32_e32 v44, v191, v14
	v_mul_f32_e32 v46, v139, v12
	v_fmac_f32_e32 v15, v134, v0
	v_dual_mul_f32 v0, v135, v0 :: v_dual_fmac_f32 v29, v138, v2
	v_fmac_f32_e32 v4, v224, v5
	v_mul_f32_e32 v5, v225, v5
	v_fmac_f32_e32 v44, v190, v13
	s_delay_alu instid0(VALU_DEP_4) | instskip(SKIP_3) | instid1(VALU_DEP_3)
	v_fma_f32 v16, v134, v1, -v0
	v_mul_f32_e32 v0, v139, v2
	v_fmac_f32_e32 v46, v138, v11
	v_fma_f32 v5, v224, v6, -v5
	v_fma_f32 v30, v138, v3, -v0
	ds_load_2addr_b64 v[0:3], v74 offset0:6 offset1:249
	s_wait_dscnt 0x0
	v_mul_f32_e32 v31, v137, v1
	v_mul_f32_e32 v33, v189, v3
	s_delay_alu instid0(VALU_DEP_2) | instskip(NEXT) | instid1(VALU_DEP_2)
	v_fmac_f32_e32 v31, v136, v0
	v_dual_mul_f32 v0, v137, v0 :: v_dual_fmac_f32 v33, v188, v2
	s_delay_alu instid0(VALU_DEP_1) | instskip(SKIP_4) | instid1(VALU_DEP_1)
	v_fma_f32 v32, v136, v1, -v0
	v_mul_f32_e32 v0, v189, v2
	ds_load_b64 v[1:2], v64 offset:50544
	v_fma_f32 v34, v188, v3, -v0
	v_mul_f32_e32 v3, v229, v7
	v_fma_f32 v3, v228, v8, -v3
	s_wait_dscnt 0x0
	v_mul_f32_e32 v0, v231, v2
	s_delay_alu instid0(VALU_DEP_1) | instskip(SKIP_1) | instid1(VALU_DEP_1)
	v_fmac_f32_e32 v0, v230, v1
	v_mul_f32_e32 v1, v231, v1
	v_fma_f32 v2, v230, v2, -v1
	v_mul_f32_e32 v1, v229, v8
	s_delay_alu instid0(VALU_DEP_1) | instskip(SKIP_4) | instid1(VALU_DEP_2)
	v_fmac_f32_e32 v1, v228, v7
	ds_load_2addr_b64 v[7:10], v63 offset0:8 offset1:251
	s_wait_dscnt 0x0
	v_mul_f32_e32 v6, v227, v10
	v_mul_f32_e32 v36, v199, v8
	v_fmac_f32_e32 v6, v226, v9
	s_delay_alu instid0(VALU_DEP_2) | instskip(SKIP_1) | instid1(VALU_DEP_2)
	v_dual_mul_f32 v9, v227, v9 :: v_dual_fmac_f32 v36, v198, v7
	v_mul_f32_e32 v7, v199, v7
	v_fma_f32 v35, v226, v10, -v9
	s_delay_alu instid0(VALU_DEP_2) | instskip(SKIP_4) | instid1(VALU_DEP_2)
	v_fma_f32 v37, v198, v8, -v7
	ds_load_2addr_b64 v[7:10], v75 offset0:10 offset1:253
	s_wait_dscnt 0x0
	v_mul_f32_e32 v38, v197, v10
	v_mul_f32_e32 v40, v189, v8
	v_fmac_f32_e32 v38, v196, v9
	s_delay_alu instid0(VALU_DEP_2) | instskip(SKIP_1) | instid1(VALU_DEP_2)
	v_dual_mul_f32 v9, v197, v9 :: v_dual_fmac_f32 v40, v188, v7
	v_mul_f32_e32 v7, v189, v7
	v_fma_f32 v39, v196, v10, -v9
	s_delay_alu instid0(VALU_DEP_2) | instskip(SKIP_4) | instid1(VALU_DEP_2)
	v_fma_f32 v41, v188, v8, -v7
	ds_load_2addr_b64 v[7:10], v58 offset0:12 offset1:255
	s_wait_dscnt 0x0
	v_mul_f32_e32 v42, v191, v8
	v_mul_f32_e32 v52, v135, v10
	v_fmac_f32_e32 v42, v190, v7
	s_delay_alu instid0(VALU_DEP_2) | instskip(NEXT) | instid1(VALU_DEP_1)
	v_dual_mul_f32 v7, v191, v7 :: v_dual_fmac_f32 v52, v134, v9
	v_fma_f32 v43, v190, v8, -v7
	v_mul_f32_e32 v7, v191, v13
	s_delay_alu instid0(VALU_DEP_1) | instskip(SKIP_1) | instid1(VALU_DEP_1)
	v_fma_f32 v45, v190, v14, -v7
	v_mul_f32_e32 v7, v139, v11
	v_fma_f32 v47, v138, v12, -v7
	ds_load_2addr_b64 v[11:14], v68 offset0:4 offset1:247
	s_wait_dscnt 0x0
	v_mul_f32_e32 v7, v137, v13
	v_mul_f32_e32 v48, v137, v14
	;; [unrolled: 1-line block ×3, first 2 shown]
	s_delay_alu instid0(VALU_DEP_3) | instskip(NEXT) | instid1(VALU_DEP_3)
	v_fma_f32 v49, v136, v14, -v7
	v_dual_mul_f32 v7, v133, v11 :: v_dual_fmac_f32 v48, v136, v13
	s_delay_alu instid0(VALU_DEP_3) | instskip(NEXT) | instid1(VALU_DEP_2)
	v_fmac_f32_e32 v50, v132, v11
	v_fma_f32 v51, v132, v12, -v7
	v_mul_f32_e32 v7, v135, v9
	s_delay_alu instid0(VALU_DEP_1) | instskip(SKIP_3) | instid1(VALU_DEP_1)
	v_fma_f32 v53, v134, v10, -v7
	ds_load_2addr_b64 v[7:10], v66 offset0:8 offset1:251
	s_wait_dscnt 0x0
	v_mul_f32_e32 v13, v133, v10
	v_fmac_f32_e32 v13, v132, v9
	v_mul_f32_e32 v9, v133, v9
	s_delay_alu instid0(VALU_DEP_1)
	v_fma_f32 v14, v132, v10, -v9
	ds_load_2addr_b64 v[9:12], v64 offset1:243
	v_add_f32_e32 v18, v14, v16
	s_wait_dscnt 0x0
	v_add_f32_e32 v17, v10, v14
	v_sub_f32_e32 v14, v14, v16
	s_delay_alu instid0(VALU_DEP_3) | instskip(NEXT) | instid1(VALU_DEP_3)
	v_fma_f32 v10, -0.5, v18, v10
	v_add_f32_e32 v26, v17, v16
	v_add_f32_e32 v16, v9, v13
	s_delay_alu instid0(VALU_DEP_1) | instskip(SKIP_2) | instid1(VALU_DEP_2)
	v_add_f32_e32 v25, v16, v15
	v_add_f32_e32 v16, v13, v15
	v_sub_f32_e32 v13, v13, v15
	v_fma_f32 v9, -0.5, v16, v9
	s_delay_alu instid0(VALU_DEP_2) | instskip(NEXT) | instid1(VALU_DEP_2)
	v_fmamk_f32 v28, v13, 0x3f5db3d7, v10
	v_dual_fmac_f32 v10, 0xbf5db3d7, v13 :: v_dual_fmamk_f32 v27, v14, 0xbf5db3d7, v9
	v_fmac_f32_e32 v9, 0x3f5db3d7, v14
	ds_load_2addr_b64 v[13:16], v57 offset0:6 offset1:249
	ds_load_2addr_b64 v[17:20], v73 offset0:12 offset1:255
	;; [unrolled: 1-line block ×3, first 2 shown]
	global_wb scope:SCOPE_SE
	s_wait_dscnt 0x0
	s_barrier_signal -1
	s_barrier_wait -1
	global_inv scope:SCOPE_SE
	ds_store_b64 v64, v[27:28] offset:5832
	ds_store_b64 v64, v[9:10] offset:11664
	v_dual_add_f32 v9, v11, v31 :: v_dual_add_f32 v10, v12, v32
	s_delay_alu instid0(VALU_DEP_1) | instskip(SKIP_4) | instid1(VALU_DEP_3)
	v_dual_add_f32 v9, v9, v29 :: v_dual_add_f32 v10, v10, v30
	ds_store_2addr_b64 v64, v[25:26], v[9:10] offset1:243
	v_dual_add_f32 v9, v31, v29 :: v_dual_sub_f32 v10, v32, v30
	v_dual_sub_f32 v25, v31, v29 :: v_dual_add_f32 v26, v14, v34
	v_add_f32_e32 v27, v15, v50
	v_fma_f32 v11, -0.5, v9, v11
	v_add_f32_e32 v9, v32, v30
	v_add_f32_e32 v28, v16, v51
	v_dual_add_f32 v26, v26, v43 :: v_dual_add_f32 v29, v19, v40
	v_add_f32_e32 v30, v20, v41
	s_delay_alu instid0(VALU_DEP_4) | instskip(SKIP_2) | instid1(VALU_DEP_3)
	v_dual_fmac_f32 v12, -0.5, v9 :: v_dual_fmamk_f32 v9, v10, 0xbf5db3d7, v11
	v_fmac_f32_e32 v11, 0x3f5db3d7, v10
	v_dual_sub_f32 v31, v41, v45 :: v_dual_sub_f32 v32, v40, v44
	v_fmamk_f32 v10, v25, 0x3f5db3d7, v12
	v_fmac_f32_e32 v12, 0xbf5db3d7, v25
	v_add_f32_e32 v25, v13, v33
	s_delay_alu instid0(VALU_DEP_1)
	v_add_f32_e32 v25, v25, v42
	ds_store_b64 v64, v[11:12] offset:13608
	ds_store_b64 v64, v[25:26] offset:3888
	v_dual_add_f32 v12, v34, v43 :: v_dual_add_f32 v11, v33, v42
	v_dual_sub_f32 v25, v34, v43 :: v_dual_sub_f32 v26, v33, v42
	v_sub_f32_e32 v33, v48, v46
	s_delay_alu instid0(VALU_DEP_3) | instskip(NEXT) | instid1(VALU_DEP_4)
	v_fma_f32 v12, -0.5, v12, v14
	v_fma_f32 v11, -0.5, v11, v13
	s_delay_alu instid0(VALU_DEP_2) | instskip(NEXT) | instid1(VALU_DEP_2)
	v_fmamk_f32 v14, v26, 0x3f5db3d7, v12
	v_fmamk_f32 v13, v25, 0xbf5db3d7, v11
	v_fmac_f32_e32 v11, 0x3f5db3d7, v25
	v_fmac_f32_e32 v12, 0xbf5db3d7, v26
	ds_store_2addr_b64 v73, v[9:10], v[13:14] offset0:12 offset1:255
	v_dual_add_f32 v9, v50, v52 :: v_dual_sub_f32 v10, v51, v53
	v_sub_f32_e32 v13, v50, v52
	s_delay_alu instid0(VALU_DEP_2) | instskip(SKIP_1) | instid1(VALU_DEP_1)
	v_fma_f32 v15, -0.5, v9, v15
	v_add_f32_e32 v9, v51, v53
	v_dual_fmac_f32 v16, -0.5, v9 :: v_dual_fmamk_f32 v9, v10, 0xbf5db3d7, v15
	s_delay_alu instid0(VALU_DEP_1) | instskip(SKIP_1) | instid1(VALU_DEP_1)
	v_dual_fmac_f32 v15, 0x3f5db3d7, v10 :: v_dual_fmamk_f32 v10, v13, 0x3f5db3d7, v16
	v_dual_fmac_f32 v16, 0xbf5db3d7, v13 :: v_dual_add_f32 v13, v40, v44
	v_fma_f32 v19, -0.5, v13, v19
	v_add_f32_e32 v13, v41, v45
	s_delay_alu instid0(VALU_DEP_1) | instskip(NEXT) | instid1(VALU_DEP_1)
	v_dual_fmac_f32 v20, -0.5, v13 :: v_dual_fmamk_f32 v13, v31, 0xbf5db3d7, v19
	v_dual_fmac_f32 v19, 0x3f5db3d7, v31 :: v_dual_fmamk_f32 v14, v32, 0x3f5db3d7, v20
	v_fmac_f32_e32 v20, 0xbf5db3d7, v32
	ds_store_2addr_b64 v75, v[13:14], v[15:16] offset0:10 offset1:253
	v_dual_add_f32 v13, v48, v46 :: v_dual_add_f32 v14, v49, v47
	v_sub_f32_e32 v16, v49, v47
	s_delay_alu instid0(VALU_DEP_2) | instskip(NEXT) | instid1(VALU_DEP_3)
	v_fma_f32 v13, -0.5, v13, v17
	v_fma_f32 v14, -0.5, v14, v18
	v_dual_add_f32 v17, v17, v48 :: v_dual_add_f32 v18, v18, v49
	s_delay_alu instid0(VALU_DEP_3) | instskip(NEXT) | instid1(VALU_DEP_3)
	v_fmamk_f32 v15, v16, 0xbf5db3d7, v13
	v_dual_fmac_f32 v13, 0x3f5db3d7, v16 :: v_dual_fmamk_f32 v16, v33, 0x3f5db3d7, v14
	v_fmac_f32_e32 v14, 0xbf5db3d7, v33
	ds_store_2addr_b64 v70, v[13:14], v[19:20] offset1:243
	v_dual_add_f32 v13, v27, v52 :: v_dual_add_f32 v14, v28, v53
	ds_store_2addr_b64 v66, v[11:12], v[13:14] offset0:8 offset1:251
	ds_store_2addr_b64 v68, v[9:10], v[15:16] offset0:4 offset1:247
	v_add_f32_e32 v9, v17, v46
	scratch_load_b32 v17, off, off offset:676 th:TH_LOAD_LU ; 4-byte Folded Reload
	v_dual_add_f32 v10, v18, v47 :: v_dual_add_f32 v11, v29, v44
	v_add_f32_e32 v12, v30, v45
	v_dual_sub_f32 v15, v39, v37 :: v_dual_sub_f32 v16, v38, v36
	ds_store_2addr_b64 v74, v[9:10], v[11:12] offset0:6 offset1:249
	v_add_f32_e32 v11, v22, v39
	v_dual_add_f32 v9, v38, v36 :: v_dual_add_f32 v10, v39, v37
	s_delay_alu instid0(VALU_DEP_2) | instskip(NEXT) | instid1(VALU_DEP_2)
	v_dual_add_f32 v12, v11, v37 :: v_dual_add_f32 v11, v21, v38
	v_fma_f32 v9, -0.5, v9, v21
	s_delay_alu instid0(VALU_DEP_3) | instskip(NEXT) | instid1(VALU_DEP_3)
	v_fma_f32 v10, -0.5, v10, v22
	v_add_f32_e32 v11, v11, v36
	s_delay_alu instid0(VALU_DEP_3) | instskip(NEXT) | instid1(VALU_DEP_3)
	v_fmamk_f32 v13, v15, 0xbf5db3d7, v9
	v_fmamk_f32 v14, v16, 0x3f5db3d7, v10
	s_wait_loadcnt 0x0
	ds_store_b64 v17, v[11:12] offset:34992
	ds_store_b64 v17, v[13:14] offset:40824
	v_fmac_f32_e32 v9, 0x3f5db3d7, v15
	v_fmac_f32_e32 v10, 0xbf5db3d7, v16
	v_dual_add_f32 v11, v23, v4 :: v_dual_add_f32 v12, v24, v5
	scratch_load_b32 v13, off, off offset:680 th:TH_LOAD_LU ; 4-byte Folded Reload
	v_dual_add_f32 v11, v11, v6 :: v_dual_add_f32 v12, v12, v35
	ds_store_b64 v17, v[9:10] offset:46656
	v_add_f32_e32 v9, v4, v6
	v_sub_f32_e32 v6, v4, v6
	v_add_f32_e32 v10, v8, v3
	s_delay_alu instid0(VALU_DEP_3) | instskip(SKIP_1) | instid1(VALU_DEP_3)
	v_fma_f32 v23, -0.5, v9, v23
	v_add_f32_e32 v9, v5, v35
	v_dual_sub_f32 v5, v5, v35 :: v_dual_add_f32 v10, v10, v2
	s_delay_alu instid0(VALU_DEP_2) | instskip(NEXT) | instid1(VALU_DEP_2)
	v_fmac_f32_e32 v24, -0.5, v9
	v_fmamk_f32 v4, v5, 0xbf5db3d7, v23
	v_fmac_f32_e32 v23, 0x3f5db3d7, v5
	s_delay_alu instid0(VALU_DEP_3) | instskip(SKIP_2) | instid1(VALU_DEP_1)
	v_fmamk_f32 v5, v6, 0x3f5db3d7, v24
	v_fmac_f32_e32 v24, 0xbf5db3d7, v6
	v_add_f32_e32 v6, v7, v1
	v_add_f32_e32 v9, v6, v0
	;; [unrolled: 1-line block ×3, first 2 shown]
	s_delay_alu instid0(VALU_DEP_1) | instskip(SKIP_2) | instid1(VALU_DEP_2)
	v_fma_f32 v7, -0.5, v6, v7
	v_add_f32_e32 v6, v3, v2
	v_dual_sub_f32 v2, v3, v2 :: v_dual_sub_f32 v3, v1, v0
	v_fmac_f32_e32 v8, -0.5, v6
	s_delay_alu instid0(VALU_DEP_2)
	v_fmamk_f32 v0, v2, 0xbf5db3d7, v7
	v_fmac_f32_e32 v7, 0x3f5db3d7, v2
	scratch_load_b32 v2, off, off offset:672 th:TH_LOAD_LU ; 4-byte Folded Reload
	v_fmamk_f32 v1, v3, 0x3f5db3d7, v8
	v_fmac_f32_e32 v8, 0xbf5db3d7, v3
	s_wait_loadcnt 0x1
	ds_store_b64 v13, v[11:12] offset:34992
	ds_store_b64 v13, v[23:24] offset:46656
	s_wait_loadcnt 0x0
	ds_store_b64 v2, v[7:8] offset:46656
	ds_store_b64 v13, v[4:5] offset:40824
	;; [unrolled: 1-line block ×4, first 2 shown]
	global_wb scope:SCOPE_SE
	s_wait_dscnt 0x0
	s_barrier_signal -1
	s_barrier_wait -1
	global_inv scope:SCOPE_SE
	ds_load_2addr_b64 v[0:3], v66 offset0:8 offset1:251
	ds_load_2addr_b64 v[10:13], v64 offset1:243
	s_wait_dscnt 0x1
	v_mul_f32_e32 v14, v201, v3
	s_delay_alu instid0(VALU_DEP_1) | instskip(SKIP_1) | instid1(VALU_DEP_1)
	v_fmac_f32_e32 v14, v200, v2
	v_mul_f32_e32 v2, v201, v2
	v_fma_f32 v15, v200, v3, -v2
	ds_load_2addr_b64 v[2:5], v67 offset0:6 offset1:249
	s_wait_dscnt 0x0
	v_mul_f32_e32 v16, v203, v3
	v_mul_f32_e32 v48, v195, v5
	s_delay_alu instid0(VALU_DEP_2) | instskip(SKIP_1) | instid1(VALU_DEP_3)
	v_fmac_f32_e32 v16, v202, v2
	v_mul_f32_e32 v2, v203, v2
	v_fmac_f32_e32 v48, v194, v4
	s_delay_alu instid0(VALU_DEP_2) | instskip(SKIP_1) | instid1(VALU_DEP_2)
	v_fma_f32 v17, v202, v3, -v2
	v_mul_f32_e32 v2, v195, v4
	v_add_f32_e32 v18, v15, v17
	s_delay_alu instid0(VALU_DEP_2) | instskip(SKIP_4) | instid1(VALU_DEP_2)
	v_fma_f32 v49, v194, v5, -v2
	ds_load_2addr_b64 v[3:6], v74 offset0:6 offset1:249
	s_wait_dscnt 0x0
	v_mul_f32_e32 v2, v193, v3
	v_mul_f32_e32 v50, v193, v4
	v_fma_f32 v51, v192, v4, -v2
	v_mul_f32_e32 v4, v233, v6
	v_mul_f32_e32 v2, v233, v5
	s_delay_alu instid0(VALU_DEP_4) | instskip(NEXT) | instid1(VALU_DEP_3)
	v_fmac_f32_e32 v50, v192, v3
	v_fmac_f32_e32 v4, v232, v5
	s_delay_alu instid0(VALU_DEP_3) | instskip(SKIP_4) | instid1(VALU_DEP_2)
	v_fma_f32 v5, v232, v6, -v2
	ds_load_2addr_b64 v[6:9], v58 offset0:12 offset1:255
	s_wait_dscnt 0x0
	v_mul_f32_e32 v2, v235, v7
	v_mul_f32_e32 v3, v235, v6
	v_fmac_f32_e32 v2, v234, v6
	v_add_f32_e32 v6, v11, v15
	s_delay_alu instid0(VALU_DEP_3) | instskip(SKIP_2) | instid1(VALU_DEP_4)
	v_fma_f32 v3, v234, v7, -v3
	v_sub_f32_e32 v15, v15, v17
	v_fma_f32 v11, -0.5, v18, v11
	v_add_f32_e32 v7, v6, v17
	v_add_f32_e32 v6, v10, v14
	;; [unrolled: 1-line block ×3, first 2 shown]
	s_delay_alu instid0(VALU_DEP_2) | instskip(NEXT) | instid1(VALU_DEP_2)
	v_add_f32_e32 v6, v6, v16
	v_fma_f32 v10, -0.5, v17, v10
	v_sub_f32_e32 v16, v14, v16
	s_delay_alu instid0(VALU_DEP_2) | instskip(NEXT) | instid1(VALU_DEP_2)
	v_fmamk_f32 v14, v15, 0xbf5db3d7, v10
	v_dual_fmac_f32 v10, 0x3f5db3d7, v15 :: v_dual_fmamk_f32 v15, v16, 0x3f5db3d7, v11
	v_fmac_f32_e32 v11, 0xbf5db3d7, v16
	ds_store_b64 v64, v[14:15] offset:17496
	ds_store_b64 v64, v[10:11] offset:34992
	v_dual_add_f32 v10, v12, v50 :: v_dual_add_f32 v11, v13, v51
	ds_load_b64 v[46:47], v64 offset:50544
	ds_load_2addr_b64 v[14:17], v57 offset0:6 offset1:249
	ds_load_2addr_b64 v[18:21], v68 offset0:4 offset1:247
	;; [unrolled: 1-line block ×7, first 2 shown]
	ds_load_2addr_b64 v[42:45], v70 offset1:243
	v_dual_add_f32 v10, v10, v48 :: v_dual_add_f32 v11, v11, v49
	ds_store_2addr_b64 v64, v[6:7], v[10:11] offset1:243
	v_dual_add_f32 v6, v50, v48 :: v_dual_sub_f32 v7, v51, v49
	v_dual_sub_f32 v10, v50, v48 :: v_dual_add_f32 v11, v5, v3
	v_sub_f32_e32 v50, v4, v2
	s_delay_alu instid0(VALU_DEP_3) | instskip(SKIP_4) | instid1(VALU_DEP_2)
	v_fma_f32 v12, -0.5, v6, v12
	v_dual_add_f32 v6, v51, v49 :: v_dual_sub_f32 v49, v5, v3
	s_wait_dscnt 0x8
	v_fma_f32 v11, -0.5, v11, v15
	s_wait_dscnt 0x7
	v_dual_mul_f32 v52, v209, v21 :: v_dual_fmac_f32 v13, -0.5, v6
	v_fmamk_f32 v6, v7, 0xbf5db3d7, v12
	v_fmac_f32_e32 v12, 0x3f5db3d7, v7
	s_delay_alu instid0(VALU_DEP_3) | instskip(SKIP_2) | instid1(VALU_DEP_1)
	v_dual_fmac_f32 v52, v208, v20 :: v_dual_fmamk_f32 v7, v10, 0x3f5db3d7, v13
	v_fmac_f32_e32 v13, 0xbf5db3d7, v10
	v_add_f32_e32 v10, v4, v2
	v_fma_f32 v10, -0.5, v10, v14
	s_delay_alu instid0(VALU_DEP_1)
	v_fmamk_f32 v48, v49, 0xbf5db3d7, v10
	v_dual_fmac_f32 v10, 0x3f5db3d7, v49 :: v_dual_fmamk_f32 v49, v50, 0x3f5db3d7, v11
	v_fmac_f32_e32 v11, 0xbf5db3d7, v50
	v_add_nc_u32_e32 v50, 0x9000, v64
	ds_store_2addr_b64 v74, v[6:7], v[48:49] offset0:6 offset1:249
	ds_store_2addr_b64 v50, v[12:13], v[10:11] offset0:9 offset1:252
	v_mul_f32_e32 v50, v163, v9
	v_mul_f32_e32 v12, v161, v19
	s_wait_dscnt 0x3
	v_mul_f32_e32 v11, v221, v45
	v_mul_f32_e32 v10, v221, v44
	v_fmac_f32_e32 v50, v162, v8
	v_mul_f32_e32 v8, v163, v8
	v_fmac_f32_e32 v12, v160, v18
	v_fmac_f32_e32 v11, v220, v44
	v_fma_f32 v10, v220, v45, -v10
	s_delay_alu instid0(VALU_DEP_4) | instskip(SKIP_3) | instid1(VALU_DEP_3)
	v_fma_f32 v51, v162, v9, -v8
	v_mul_f32_e32 v8, v161, v18
	v_dual_mul_f32 v9, v213, v43 :: v_dual_mul_f32 v18, v223, v46
	v_add_f32_e32 v45, v0, v11
	v_fma_f32 v13, v160, v19, -v8
	s_delay_alu instid0(VALU_DEP_3) | instskip(NEXT) | instid1(VALU_DEP_1)
	v_dual_mul_f32 v8, v209, v20 :: v_dual_fmac_f32 v9, v212, v42
	v_fma_f32 v20, v208, v21, -v8
	v_mul_f32_e32 v21, v211, v27
	v_mul_f32_e32 v8, v211, v26
	s_delay_alu instid0(VALU_DEP_2) | instskip(NEXT) | instid1(VALU_DEP_2)
	v_fmac_f32_e32 v21, v210, v26
	v_fma_f32 v26, v210, v27, -v8
	v_mul_f32_e32 v27, v207, v29
	s_delay_alu instid0(VALU_DEP_2) | instskip(NEXT) | instid1(VALU_DEP_2)
	v_dual_mul_f32 v8, v207, v28 :: v_dual_sub_f32 v19, v20, v26
	v_fmac_f32_e32 v27, v206, v28
	s_delay_alu instid0(VALU_DEP_2) | instskip(SKIP_2) | instid1(VALU_DEP_2)
	v_fma_f32 v28, v206, v29, -v8
	v_mul_f32_e32 v29, v205, v31
	v_mul_f32_e32 v8, v205, v30
	v_fmac_f32_e32 v29, v204, v30
	s_delay_alu instid0(VALU_DEP_2) | instskip(SKIP_2) | instid1(VALU_DEP_3)
	v_fma_f32 v30, v204, v31, -v8
	v_mul_f32_e32 v31, v217, v33
	v_mul_f32_e32 v8, v217, v32
	v_add_f32_e32 v53, v25, v30
	s_delay_alu instid0(VALU_DEP_3) | instskip(NEXT) | instid1(VALU_DEP_3)
	v_fmac_f32_e32 v31, v216, v32
	v_fma_f32 v32, v216, v33, -v8
	v_mul_f32_e32 v33, v219, v39
	v_mul_f32_e32 v8, v219, v38
	s_delay_alu instid0(VALU_DEP_2) | instskip(NEXT) | instid1(VALU_DEP_2)
	v_fmac_f32_e32 v33, v218, v38
	v_fma_f32 v38, v218, v39, -v8
	v_mul_f32_e32 v39, v215, v41
	v_mul_f32_e32 v8, v215, v40
	s_delay_alu instid0(VALU_DEP_2) | instskip(NEXT) | instid1(VALU_DEP_2)
	v_fmac_f32_e32 v39, v214, v40
	v_fma_f32 v40, v214, v41, -v8
	v_mul_f32_e32 v8, v213, v42
	v_fma_f32 v42, v222, v47, -v18
	v_mul_f32_e32 v41, v223, v47
	v_dual_add_f32 v18, v9, v39 :: v_dual_sub_f32 v47, v52, v21
	s_delay_alu instid0(VALU_DEP_4) | instskip(SKIP_1) | instid1(VALU_DEP_4)
	v_fma_f32 v8, v212, v43, -v8
	v_add_f32_e32 v43, v36, v9
	v_fmac_f32_e32 v41, v222, v46
	s_delay_alu instid0(VALU_DEP_4) | instskip(SKIP_2) | instid1(VALU_DEP_1)
	v_fma_f32 v36, -0.5, v18, v36
	v_add_f32_e32 v46, v1, v10
	v_add_f32_e32 v18, v8, v40
	v_dual_add_f32 v44, v37, v8 :: v_dual_fmac_f32 v37, -0.5, v18
	v_sub_f32_e32 v18, v8, v40
	s_delay_alu instid0(VALU_DEP_1) | instskip(SKIP_2) | instid1(VALU_DEP_1)
	v_fmamk_f32 v8, v18, 0xbf5db3d7, v36
	v_fmac_f32_e32 v36, 0x3f5db3d7, v18
	v_sub_f32_e32 v18, v9, v39
	v_fmamk_f32 v9, v18, 0x3f5db3d7, v37
	v_dual_fmac_f32 v37, 0xbf5db3d7, v18 :: v_dual_add_f32 v18, v11, v41
	s_delay_alu instid0(VALU_DEP_1) | instskip(SKIP_1) | instid1(VALU_DEP_1)
	v_fma_f32 v0, -0.5, v18, v0
	v_add_f32_e32 v18, v10, v42
	v_fmac_f32_e32 v1, -0.5, v18
	v_sub_f32_e32 v18, v10, v42
	s_delay_alu instid0(VALU_DEP_1) | instskip(SKIP_2) | instid1(VALU_DEP_1)
	v_fmamk_f32 v10, v18, 0xbf5db3d7, v0
	v_fmac_f32_e32 v0, 0x3f5db3d7, v18
	v_sub_f32_e32 v18, v11, v41
	v_fmamk_f32 v11, v18, 0x3f5db3d7, v1
	v_fmac_f32_e32 v1, 0xbf5db3d7, v18
	ds_store_2addr_b64 v65, v[36:37], v[0:1] offset0:11 offset1:254
	v_add_f32_e32 v0, v12, v50
	v_dual_add_f32 v36, v16, v12 :: v_dual_add_f32 v37, v17, v13
	v_dual_sub_f32 v1, v13, v51 :: v_dual_sub_f32 v12, v12, v50
	s_delay_alu instid0(VALU_DEP_3) | instskip(SKIP_1) | instid1(VALU_DEP_4)
	v_fma_f32 v16, -0.5, v0, v16
	v_dual_add_f32 v0, v13, v51 :: v_dual_add_f32 v13, v20, v26
	v_dual_add_f32 v6, v36, v50 :: v_dual_add_f32 v7, v37, v51
	s_delay_alu instid0(VALU_DEP_2) | instskip(SKIP_1) | instid1(VALU_DEP_4)
	v_dual_fmac_f32 v17, -0.5, v0 :: v_dual_fmamk_f32 v0, v1, 0xbf5db3d7, v16
	v_fmac_f32_e32 v16, 0x3f5db3d7, v1
	v_fma_f32 v13, -0.5, v13, v23
	s_delay_alu instid0(VALU_DEP_3) | instskip(SKIP_1) | instid1(VALU_DEP_1)
	v_fmamk_f32 v1, v12, 0x3f5db3d7, v17
	v_dual_fmac_f32 v17, 0xbf5db3d7, v12 :: v_dual_add_f32 v12, v52, v21
	v_fma_f32 v12, -0.5, v12, v22
	s_delay_alu instid0(VALU_DEP_1)
	v_fmamk_f32 v18, v19, 0xbf5db3d7, v12
	v_dual_fmac_f32 v12, 0x3f5db3d7, v19 :: v_dual_fmamk_f32 v19, v47, 0x3f5db3d7, v13
	v_fmac_f32_e32 v13, 0xbf5db3d7, v47
	v_add_nc_u32_e32 v47, 0x9f40, v64
	ds_store_2addr_b64 v47, v[16:17], v[12:13] offset0:7 offset1:250
	v_add_f32_e32 v16, v14, v4
	v_dual_add_f32 v4, v29, v27 :: v_dual_add_f32 v47, v24, v29
	v_add_f32_e32 v17, v15, v5
	v_dual_sub_f32 v5, v30, v28 :: v_dual_sub_f32 v12, v29, v27
	s_delay_alu instid0(VALU_DEP_3) | instskip(SKIP_3) | instid1(VALU_DEP_3)
	v_fma_f32 v24, -0.5, v4, v24
	v_dual_add_f32 v4, v30, v28 :: v_dual_add_f32 v13, v32, v38
	v_sub_f32_e32 v15, v32, v38
	v_dual_sub_f32 v29, v31, v33 :: v_dual_add_f32 v2, v16, v2
	v_dual_fmac_f32 v25, -0.5, v4 :: v_dual_fmamk_f32 v4, v5, 0xbf5db3d7, v24
	v_fmac_f32_e32 v24, 0x3f5db3d7, v5
	v_fma_f32 v13, -0.5, v13, v35
	v_add_f32_e32 v3, v17, v3
	s_delay_alu instid0(VALU_DEP_4) | instskip(SKIP_1) | instid1(VALU_DEP_1)
	v_fmamk_f32 v5, v12, 0x3f5db3d7, v25
	v_dual_fmac_f32 v25, 0xbf5db3d7, v12 :: v_dual_add_f32 v12, v31, v33
	v_fma_f32 v12, -0.5, v12, v34
	s_delay_alu instid0(VALU_DEP_1)
	v_fmamk_f32 v14, v15, 0xbf5db3d7, v12
	v_dual_fmac_f32 v12, 0x3f5db3d7, v15 :: v_dual_fmamk_f32 v15, v29, 0x3f5db3d7, v13
	v_fmac_f32_e32 v13, 0xbf5db3d7, v29
	ds_store_2addr_b64 v71, v[24:25], v[12:13] offset0:5 offset1:248
	v_add_f32_e32 v12, v22, v52
	v_dual_add_f32 v13, v23, v20 :: v_dual_add_f32 v20, v34, v31
	v_add_f32_e32 v22, v35, v32
	ds_store_2addr_b64 v57, v[2:3], v[6:7] offset0:6 offset1:249
	ds_store_2addr_b64 v68, v[0:1], v[18:19] offset0:4 offset1:247
	v_dual_add_f32 v0, v12, v21 :: v_dual_add_f32 v1, v13, v26
	v_dual_add_f32 v2, v47, v27 :: v_dual_add_f32 v3, v53, v28
	ds_store_2addr_b64 v73, v[0:1], v[2:3] offset0:12 offset1:255
	ds_store_2addr_b64 v75, v[4:5], v[14:15] offset0:10 offset1:253
	v_dual_add_f32 v0, v20, v33 :: v_dual_add_f32 v1, v22, v38
	v_dual_add_f32 v2, v43, v39 :: v_dual_add_f32 v3, v44, v40
	ds_store_2addr_b64 v69, v[0:1], v[2:3] offset0:2 offset1:245
	ds_store_2addr_b64 v70, v[8:9], v[10:11] offset1:243
	v_dual_add_f32 v0, v45, v41 :: v_dual_add_f32 v1, v46, v42
	ds_store_b64 v64, v[0:1] offset:15552
	global_wb scope:SCOPE_SE
	s_wait_dscnt 0x0
	s_barrier_signal -1
	s_barrier_wait -1
	global_inv scope:SCOPE_SE
	scratch_load_b64 v[5:6], off, off offset:216 th:TH_LOAD_LU ; 8-byte Folded Reload
	ds_load_2addr_b64 v[1:4], v64 offset1:243
	s_clause 0x2
	scratch_load_b64 v[9:10], off, off offset:200 th:TH_LOAD_LU
	scratch_load_b64 v[13:14], off, off offset:176 th:TH_LOAD_LU
	;; [unrolled: 1-line block ×3, first 2 shown]
	ds_load_2addr_b64 v[23:26], v58 offset0:12 offset1:255
	ds_load_2addr_b64 v[29:32], v73 offset0:12 offset1:255
	s_clause 0x1
	scratch_load_b64 v[38:39], off, off offset:48 th:TH_LOAD_LU
	scratch_load_b64 v[42:43], off, off offset:24 th:TH_LOAD_LU
	s_wait_loadcnt_dscnt 0x502
	v_mul_f32_e32 v0, v6, v2
	s_delay_alu instid0(VALU_DEP_1) | instskip(SKIP_1) | instid1(VALU_DEP_1)
	v_fmac_f32_e32 v0, v5, v1
	v_mul_f32_e32 v1, v6, v1
	v_fma_f32 v1, v5, v2, -v1
	scratch_load_b64 v[5:6], off, off offset:208 th:TH_LOAD_LU ; 8-byte Folded Reload
	s_wait_loadcnt 0x0
	v_mul_f32_e32 v2, v6, v4
	s_delay_alu instid0(VALU_DEP_1) | instskip(SKIP_1) | instid1(VALU_DEP_1)
	v_fmac_f32_e32 v2, v5, v3
	v_mul_f32_e32 v3, v6, v3
	v_fma_f32 v3, v5, v4, -v3
	ds_load_2addr_b64 v[5:8], v67 offset0:6 offset1:249
	s_wait_dscnt 0x0
	v_mul_f32_e32 v4, v10, v6
	s_delay_alu instid0(VALU_DEP_1) | instskip(SKIP_1) | instid1(VALU_DEP_1)
	v_fmac_f32_e32 v4, v9, v5
	v_mul_f32_e32 v5, v10, v5
	v_fma_f32 v5, v9, v6, -v5
	scratch_load_b64 v[9:10], off, off offset:192 th:TH_LOAD_LU ; 8-byte Folded Reload
	s_wait_loadcnt 0x0
	v_mul_f32_e32 v6, v10, v8
	s_delay_alu instid0(VALU_DEP_1) | instskip(SKIP_1) | instid1(VALU_DEP_1)
	v_fmac_f32_e32 v6, v9, v7
	v_mul_f32_e32 v7, v10, v7
	v_fma_f32 v12, v9, v8, -v7
	ds_load_2addr_b64 v[7:10], v74 offset0:6 offset1:249
	s_wait_dscnt 0x0
	v_mul_f32_e32 v18, v14, v8
	s_delay_alu instid0(VALU_DEP_1) | instskip(SKIP_1) | instid1(VALU_DEP_2)
	v_fmac_f32_e32 v18, v13, v7
	v_mul_f32_e32 v7, v14, v7
	v_cvt_f64_f32_e32 v[44:45], v18
	s_delay_alu instid0(VALU_DEP_2) | instskip(SKIP_2) | instid1(VALU_DEP_1)
	v_fma_f32 v19, v13, v8, -v7
	scratch_load_b64 v[13:14], off, off offset:184 th:TH_LOAD_LU ; 8-byte Folded Reload
	v_cvt_f64_f32_e32 v[18:19], v19
	v_mul_f64_e32 v[18:19], s[8:9], v[18:19]
	s_wait_loadcnt 0x0
	v_mul_f32_e32 v7, v14, v10
	v_mul_f32_e32 v8, v14, v9
	s_delay_alu instid0(VALU_DEP_2) | instskip(NEXT) | instid1(VALU_DEP_2)
	v_fmac_f32_e32 v7, v13, v9
	v_fma_f32 v14, v13, v10, -v8
	ds_load_2addr_b64 v[8:11], v57 offset0:6 offset1:249
	s_wait_dscnt 0x0
	v_mul_f32_e32 v21, v16, v9
	s_delay_alu instid0(VALU_DEP_1) | instskip(SKIP_1) | instid1(VALU_DEP_1)
	v_fmac_f32_e32 v21, v15, v8
	v_mul_f32_e32 v8, v16, v8
	v_fma_f32 v22, v15, v9, -v8
	scratch_load_b64 v[15:16], off, off offset:168 th:TH_LOAD_LU ; 8-byte Folded Reload
	s_wait_loadcnt 0x0
	v_mul_f32_e32 v8, v16, v11
	v_mul_f32_e32 v9, v16, v10
	s_delay_alu instid0(VALU_DEP_2) | instskip(NEXT) | instid1(VALU_DEP_2)
	v_fmac_f32_e32 v8, v15, v10
	v_fma_f32 v13, v15, v11, -v9
	scratch_load_b64 v[10:11], off, off offset:152 th:TH_LOAD_LU ; 8-byte Folded Reload
	s_wait_loadcnt 0x0
	v_mul_f32_e32 v17, v11, v24
	v_mul_f32_e32 v9, v11, v23
	s_delay_alu instid0(VALU_DEP_2) | instskip(NEXT) | instid1(VALU_DEP_2)
	v_fmac_f32_e32 v17, v10, v23
	;; [unrolled: 7-line block ×3, first 2 shown]
	v_fma_f32 v20, v10, v26, -v9
	scratch_load_b64 v[10:11], off, off offset:136 th:TH_LOAD_LU ; 8-byte Folded Reload
	ds_load_2addr_b64 v[24:27], v68 offset0:4 offset1:247
	v_cvt_f64_f32_e32 v[46:47], v20
	s_wait_loadcnt_dscnt 0x0
	v_mul_f32_e32 v23, v11, v25
	v_mul_f32_e32 v9, v11, v24
	s_delay_alu instid0(VALU_DEP_2) | instskip(NEXT) | instid1(VALU_DEP_2)
	v_fmac_f32_e32 v23, v10, v24
	v_fma_f32 v24, v10, v25, -v9
	scratch_load_b64 v[10:11], off, off offset:120 th:TH_LOAD_LU ; 8-byte Folded Reload
	s_wait_loadcnt 0x0
	v_mul_f32_e32 v25, v11, v27
	v_mul_f32_e32 v9, v11, v26
	s_delay_alu instid0(VALU_DEP_2) | instskip(NEXT) | instid1(VALU_DEP_2)
	v_fmac_f32_e32 v25, v10, v26
	v_fma_f32 v26, v10, v27, -v9
	scratch_load_b64 v[10:11], off, off offset:128 th:TH_LOAD_LU ; 8-byte Folded Reload
	s_wait_loadcnt 0x0
	;; [unrolled: 7-line block ×3, first 2 shown]
	v_mul_f32_e32 v27, v11, v32
	v_mul_f32_e32 v9, v11, v31
	s_delay_alu instid0(VALU_DEP_2) | instskip(NEXT) | instid1(VALU_DEP_2)
	v_fmac_f32_e32 v27, v10, v31
	v_fma_f32 v30, v10, v32, -v9
	scratch_load_b64 v[10:11], off, off offset:104 th:TH_LOAD_LU ; 8-byte Folded Reload
	ds_load_2addr_b64 v[32:35], v62 offset0:2 offset1:245
	s_wait_loadcnt_dscnt 0x0
	v_mul_f32_e32 v31, v11, v33
	v_mul_f32_e32 v9, v11, v32
	s_delay_alu instid0(VALU_DEP_2) | instskip(NEXT) | instid1(VALU_DEP_2)
	v_fmac_f32_e32 v31, v10, v32
	v_fma_f32 v32, v10, v33, -v9
	scratch_load_b64 v[10:11], off, off offset:96 th:TH_LOAD_LU ; 8-byte Folded Reload
	s_wait_loadcnt 0x0
	v_mul_f32_e32 v33, v11, v35
	v_mul_f32_e32 v9, v11, v34
	s_delay_alu instid0(VALU_DEP_2) | instskip(NEXT) | instid1(VALU_DEP_2)
	v_fmac_f32_e32 v33, v10, v34
	v_fma_f32 v48, v10, v35, -v9
	scratch_load_b64 v[10:11], off, off offset:88 th:TH_LOAD_LU ; 8-byte Folded Reload
	ds_load_2addr_b64 v[34:37], v75 offset0:10 offset1:253
	s_wait_loadcnt_dscnt 0x0
	v_mul_f32_e32 v49, v11, v35
	v_mul_f32_e32 v9, v11, v34
	s_delay_alu instid0(VALU_DEP_2) | instskip(NEXT) | instid1(VALU_DEP_2)
	v_fmac_f32_e32 v49, v10, v34
	v_fma_f32 v50, v10, v35, -v9
	scratch_load_b64 v[10:11], off, off offset:80 th:TH_LOAD_LU ; 8-byte Folded Reload
	s_wait_loadcnt 0x0
	;; [unrolled: 15-line block ×3, first 2 shown]
	v_mul_f32_e32 v55, v11, v37
	v_mul_f32_e32 v9, v11, v36
	s_delay_alu instid0(VALU_DEP_2) | instskip(NEXT) | instid1(VALU_DEP_2)
	v_fmac_f32_e32 v55, v10, v36
	v_fma_f32 v56, v10, v37, -v9
	scratch_load_b64 v[10:11], off, off offset:56 th:TH_LOAD_LU ; 8-byte Folded Reload
	ds_load_2addr_b64 v[34:37], v63 offset0:8 offset1:251
	s_wait_dscnt 0x0
	v_mul_f32_e32 v58, v39, v37
	s_wait_loadcnt 0x0
	s_delay_alu instid0(VALU_DEP_1) | instskip(SKIP_2) | instid1(VALU_DEP_1)
	v_dual_fmac_f32 v58, v38, v36 :: v_dual_mul_f32 v57, v11, v35
	v_mul_f32_e32 v9, v11, v34
	v_dual_mov_b32 v11, v10 :: v_dual_mul_f32 v10, v39, v36
	v_fmac_f32_e32 v57, v11, v34
	s_delay_alu instid0(VALU_DEP_2)
	v_fma_f32 v60, v38, v37, -v10
	scratch_load_b64 v[38:39], off, off offset:16 th:TH_LOAD_LU ; 8-byte Folded Reload
	v_fma_f32 v59, v11, v35, -v9
	ds_load_2addr_b64 v[34:37], v66 offset0:8 offset1:251
	s_wait_loadcnt_dscnt 0x0
	v_mul_f32_e32 v11, v39, v37
	v_mul_f32_e32 v9, v39, v36
	s_delay_alu instid0(VALU_DEP_2) | instskip(NEXT) | instid1(VALU_DEP_2)
	v_fmac_f32_e32 v11, v38, v36
	v_fma_f32 v40, v38, v37, -v9
	scratch_load_b64 v[36:37], off, off offset:40 th:TH_LOAD_LU ; 8-byte Folded Reload
	v_cvt_f64_f32_e32 v[40:41], v40
	s_delay_alu instid0(VALU_DEP_1)
	v_mul_f64_e32 v[40:41], s[8:9], v[40:41]
	s_wait_loadcnt 0x0
	v_mul_f32_e32 v61, v37, v35
	v_dual_mul_f32 v9, v37, v34 :: v_dual_mov_b32 v10, v36
	ds_load_2addr_b64 v[36:39], v70 offset1:243
	v_fmac_f32_e32 v61, v10, v34
	v_fma_f32 v62, v10, v35, -v9
	v_cvt_f64_f32_e32 v[34:35], v11
	v_cvt_f64_f32_e32 v[9:10], v0
	v_cvt_f64_f32_e32 v[0:1], v1
	s_wait_dscnt 0x0
	v_mul_f32_e32 v63, v43, v37
	v_mul_f32_e32 v11, v43, v36
	s_delay_alu instid0(VALU_DEP_2) | instskip(NEXT) | instid1(VALU_DEP_2)
	v_fmac_f32_e32 v63, v42, v36
	v_fma_f32 v65, v42, v37, -v11
	scratch_load_b64 v[36:37], off, off offset:32 th:TH_LOAD_LU ; 8-byte Folded Reload
	v_cvt_f64_f32_e32 v[42:43], v2
	v_cvt_f64_f32_e32 v[2:3], v3
	v_mul_f64_e32 v[34:35], s[8:9], v[34:35]
	v_mul_f64_e32 v[9:10], s[8:9], v[9:10]
	;; [unrolled: 1-line block ×3, first 2 shown]
	s_delay_alu instid0(VALU_DEP_3) | instskip(NEXT) | instid1(VALU_DEP_3)
	v_cvt_f32_f64_e32 v34, v[34:35]
	v_cvt_f32_f64_e32 v9, v[9:10]
	s_delay_alu instid0(VALU_DEP_3) | instskip(SKIP_4) | instid1(VALU_DEP_2)
	v_cvt_f32_f64_e32 v10, v[0:1]
	v_cvt_f32_f64_e32 v35, v[40:41]
	s_wait_loadcnt 0x0
	v_mul_f32_e32 v66, v37, v39
	v_mul_f32_e32 v11, v37, v38
	v_fmac_f32_e32 v66, v36, v38
	s_delay_alu instid0(VALU_DEP_2) | instskip(SKIP_3) | instid1(VALU_DEP_1)
	v_fma_f32 v67, v36, v39, -v11
	scratch_load_b64 v[38:39], off, off th:TH_LOAD_LU ; 8-byte Folded Reload
	s_wait_loadcnt 0x0
	v_mad_co_u64_u32 v[36:37], null, s6, v38, 0
	v_mov_b32_e32 v11, v37
	s_delay_alu instid0(VALU_DEP_1) | instskip(SKIP_4) | instid1(VALU_DEP_3)
	v_mad_co_u64_u32 v[37:38], null, s7, v38, v[11:12]
	scratch_load_b32 v11, off, off offset:224 th:TH_LOAD_LU ; 4-byte Folded Reload
	v_cvt_f64_f32_e32 v[38:39], v4
	v_cvt_f64_f32_e32 v[4:5], v5
	v_lshlrev_b64_e32 v[36:37], 3, v[36:37]
	v_mul_f64_e32 v[38:39], s[8:9], v[38:39]
	s_delay_alu instid0(VALU_DEP_3) | instskip(SKIP_2) | instid1(VALU_DEP_1)
	v_mul_f64_e32 v[4:5], s[8:9], v[4:5]
	s_wait_loadcnt 0x0
	v_mad_co_u64_u32 v[0:1], null, s4, v11, 0
	v_mad_co_u64_u32 v[40:41], null, s5, v11, v[1:2]
	v_mul_f64_e32 v[2:3], s[8:9], v[2:3]
	v_mul_f64_e32 v[41:42], s[8:9], v[42:43]
	v_mul_f64_e32 v[43:44], s[8:9], v[44:45]
	v_add_co_u32 v11, vcc_lo, s0, v36
	s_wait_alu 0xfffd
	v_add_co_ci_u32_e32 v36, vcc_lo, s1, v37, vcc_lo
	v_mov_b32_e32 v1, v40
	s_mul_u64 s[0:1], s[4:5], 0x4458
	s_delay_alu instid0(VALU_DEP_1) | instskip(NEXT) | instid1(VALU_DEP_1)
	v_lshlrev_b64_e32 v[0:1], 3, v[0:1]
	v_add_co_u32 v0, vcc_lo, v11, v0
	s_wait_alu 0xfffd
	s_delay_alu instid0(VALU_DEP_2)
	v_add_co_ci_u32_e32 v1, vcc_lo, v36, v1, vcc_lo
	v_cvt_f64_f32_e32 v[11:12], v12
	v_cvt_f64_f32_e32 v[36:37], v21
	;; [unrolled: 1-line block ×3, first 2 shown]
	global_store_b64 v[0:1], v[9:10], off
	v_cvt_f32_f64_e32 v10, v[4:5]
	v_cvt_f64_f32_e32 v[4:5], v6
	s_wait_alu 0xfffe
	v_add_co_u32 v0, vcc_lo, v0, s0
	s_wait_alu 0xfffd
	v_add_co_ci_u32_e32 v1, vcc_lo, s1, v1, vcc_lo
	v_cvt_f32_f64_e32 v9, v[38:39]
	v_cvt_f64_f32_e32 v[6:7], v7
	global_store_b64 v[0:1], v[34:35], off
	v_cvt_f64_f32_e32 v[34:35], v17
	v_cvt_f64_f32_e32 v[16:17], v16
	v_cvt_f32_f64_e32 v39, v[2:3]
	v_cvt_f32_f64_e32 v3, v[18:19]
	v_cvt_f64_f32_e32 v[18:19], v14
	v_cvt_f32_f64_e32 v38, v[41:42]
	v_cvt_f64_f32_e32 v[40:41], v8
	v_cvt_f64_f32_e32 v[13:14], v13
	v_cvt_f32_f64_e32 v2, v[43:44]
	v_cvt_f64_f32_e32 v[42:43], v23
	v_cvt_f64_f32_e32 v[23:24], v24
	v_cvt_f64_f32_e32 v[44:45], v15
	v_add_co_u32 v0, vcc_lo, v0, s0
	s_wait_alu 0xfffd
	v_add_co_ci_u32_e32 v1, vcc_lo, s1, v1, vcc_lo
	v_mul_f64_e32 v[11:12], s[8:9], v[11:12]
	v_mul_f64_e32 v[36:37], s[8:9], v[36:37]
	;; [unrolled: 1-line block ×4, first 2 shown]
	global_store_b64 v[0:1], v[9:10], off
	v_mul_f64_e32 v[6:7], s[8:9], v[6:7]
	v_add_co_u32 v0, vcc_lo, v0, s2
	v_mul_f64_e32 v[34:35], s[8:9], v[34:35]
	v_mul_f64_e32 v[8:9], s[8:9], v[16:17]
	s_wait_alu 0xfffd
	v_add_co_ci_u32_e32 v1, vcc_lo, s3, v1, vcc_lo
	v_mul_f64_e32 v[18:19], s[8:9], v[18:19]
	v_mul_f64_e32 v[15:16], s[8:9], v[40:41]
	;; [unrolled: 1-line block ×3, first 2 shown]
	global_store_b64 v[0:1], v[38:39], off
	v_mul_f64_e32 v[40:41], s[8:9], v[42:43]
	v_mul_f64_e32 v[22:23], s[8:9], v[23:24]
	;; [unrolled: 1-line block ×4, first 2 shown]
	v_add_co_u32 v0, vcc_lo, v0, s0
	s_wait_alu 0xfffd
	v_add_co_ci_u32_e32 v1, vcc_lo, s1, v1, vcc_lo
	v_cvt_f64_f32_e32 v[46:47], v28
	s_delay_alu instid0(VALU_DEP_3) | instskip(SKIP_1) | instid1(VALU_DEP_3)
	v_add_co_u32 v38, vcc_lo, v0, s0
	s_wait_alu 0xfffd
	v_add_co_ci_u32_e32 v39, vcc_lo, s1, v1, vcc_lo
	global_store_b64 v[0:1], v[2:3], off
	v_cvt_f64_f32_e32 v[28:29], v29
	v_cvt_f32_f64_e32 v10, v[36:37]
	v_cvt_f64_f32_e32 v[36:37], v31
	v_cvt_f64_f32_e32 v[31:32], v32
	v_cvt_f32_f64_e32 v4, v[4:5]
	v_cvt_f32_f64_e32 v5, v[11:12]
	v_cvt_f32_f64_e32 v11, v[20:21]
	v_cvt_f64_f32_e32 v[20:21], v25
	v_cvt_f64_f32_e32 v[24:25], v26
	;; [unrolled: 1-line block ×3, first 2 shown]
	v_cvt_f32_f64_e32 v6, v[6:7]
	v_cvt_f32_f64_e32 v17, v[34:35]
	v_cvt_f64_f32_e32 v[34:35], v30
	v_cvt_f32_f64_e32 v7, v[18:19]
	v_cvt_f32_f64_e32 v18, v[8:9]
	;; [unrolled: 1-line block ×8, first 2 shown]
	v_add_co_u32 v40, vcc_lo, v38, s2
	s_wait_alu 0xfffd
	v_add_co_ci_u32_e32 v41, vcc_lo, s3, v39, vcc_lo
	v_mul_f64_e32 v[22:23], s[8:9], v[46:47]
	s_delay_alu instid0(VALU_DEP_3) | instskip(SKIP_1) | instid1(VALU_DEP_3)
	v_add_co_u32 v0, vcc_lo, v40, s0
	s_wait_alu 0xfffd
	v_add_co_ci_u32_e32 v1, vcc_lo, s1, v41, vcc_lo
	v_cvt_f64_f32_e32 v[42:43], v56
	s_delay_alu instid0(VALU_DEP_3) | instskip(SKIP_1) | instid1(VALU_DEP_3)
	v_add_co_u32 v2, vcc_lo, v0, s0
	s_wait_alu 0xfffd
	v_add_co_ci_u32_e32 v3, vcc_lo, s1, v1, vcc_lo
	v_mul_f64_e32 v[28:29], s[8:9], v[28:29]
	v_mul_f64_e32 v[30:31], s[8:9], v[31:32]
	v_cvt_f64_f32_e32 v[44:45], v65
	global_store_b64 v[38:39], v[4:5], off
	v_add_co_u32 v4, vcc_lo, v2, s2
	s_wait_alu 0xfffd
	v_add_co_ci_u32_e32 v5, vcc_lo, s3, v3, vcc_lo
	global_store_b64 v[40:41], v[10:11], off
	v_mul_f64_e32 v[10:11], s[8:9], v[20:21]
	v_mul_f64_e32 v[19:20], s[8:9], v[24:25]
	;; [unrolled: 1-line block ×3, first 2 shown]
	v_add_co_u32 v36, vcc_lo, v4, s0
	s_wait_alu 0xfffd
	v_add_co_ci_u32_e32 v37, vcc_lo, s1, v5, vcc_lo
	v_mul_f64_e32 v[26:27], s[8:9], v[26:27]
	s_delay_alu instid0(VALU_DEP_3) | instskip(SKIP_1) | instid1(VALU_DEP_3)
	v_add_co_u32 v38, vcc_lo, v36, s0
	s_wait_alu 0xfffd
	v_add_co_ci_u32_e32 v39, vcc_lo, s1, v37, vcc_lo
	global_store_b64 v[0:1], v[6:7], off
	global_store_b64 v[2:3], v[17:18], off
	;; [unrolled: 1-line block ×5, first 2 shown]
	v_cvt_f64_f32_e32 v[2:3], v49
	v_cvt_f64_f32_e32 v[4:5], v50
	scratch_load_b64 v[49:50], off, off offset:8 th:TH_LOAD_LU ; 8-byte Folded Reload
	v_mul_f64_e32 v[34:35], s[8:9], v[34:35]
	ds_load_b64 v[6:7], v64 offset:50544
	v_cvt_f64_f32_e32 v[8:9], v33
	v_cvt_f64_f32_e32 v[12:13], v48
	;; [unrolled: 1-line block ×4, first 2 shown]
	v_cvt_f32_f64_e32 v0, v[22:23]
	v_cvt_f64_f32_e32 v[21:22], v51
	v_cvt_f64_f32_e32 v[32:33], v57
	;; [unrolled: 1-line block ×5, first 2 shown]
	v_add_co_u32 v38, vcc_lo, v38, s2
	v_cvt_f32_f64_e32 v1, v[28:29]
	v_cvt_f64_f32_e32 v[28:29], v52
	s_wait_alu 0xfffd
	v_add_co_ci_u32_e32 v39, vcc_lo, s3, v39, vcc_lo
	v_add_co_u32 v56, vcc_lo, v38, s0
	v_mul_f64_e32 v[42:43], s[8:9], v[42:43]
	s_wait_alu 0xfffd
	s_delay_alu instid0(VALU_DEP_3)
	v_add_co_ci_u32_e32 v57, vcc_lo, s1, v39, vcc_lo
	v_cvt_f32_f64_e32 v10, v[10:11]
	v_cvt_f32_f64_e32 v11, v[19:20]
	;; [unrolled: 1-line block ×3, first 2 shown]
	v_cvt_f64_f32_e32 v[18:19], v63
	v_cvt_f32_f64_e32 v24, v[30:31]
	v_cvt_f64_f32_e32 v[30:31], v58
	v_cvt_f32_f64_e32 v25, v[26:27]
	v_add_co_u32 v58, vcc_lo, v56, s0
	s_wait_alu 0xfffd
	v_add_co_ci_u32_e32 v59, vcc_lo, s1, v57, vcc_lo
	v_mul_f64_e32 v[44:45], s[8:9], v[44:45]
	v_mul_f64_e32 v[2:3], s[8:9], v[2:3]
	;; [unrolled: 1-line block ×3, first 2 shown]
	v_add_co_u32 v60, vcc_lo, v58, s2
	v_cvt_f32_f64_e32 v26, v[34:35]
	v_cvt_f64_f32_e32 v[34:35], v62
	v_mul_f64_e32 v[8:9], s[8:9], v[8:9]
	v_mul_f64_e32 v[12:13], s[8:9], v[12:13]
	;; [unrolled: 1-line block ×9, first 2 shown]
	v_cvt_f32_f64_e32 v2, v[2:3]
	v_cvt_f32_f64_e32 v3, v[4:5]
	;; [unrolled: 1-line block ×10, first 2 shown]
	s_wait_loadcnt_dscnt 0x0
	v_mul_f32_e32 v20, v50, v7
	v_mul_f32_e32 v48, v50, v6
	v_cvt_f64_f32_e32 v[50:51], v67
	s_delay_alu instid0(VALU_DEP_3) | instskip(NEXT) | instid1(VALU_DEP_3)
	v_fmac_f32_e32 v20, v49, v6
	v_fma_f32 v27, v49, v7, -v48
	v_cvt_f64_f32_e32 v[6:7], v61
	v_cvt_f64_f32_e32 v[48:49], v66
	s_wait_alu 0xfffd
	v_add_co_ci_u32_e32 v61, vcc_lo, s3, v59, vcc_lo
	v_cvt_f64_f32_e32 v[52:53], v20
	v_cvt_f64_f32_e32 v[54:55], v27
	v_mul_f64_e32 v[20:21], s[8:9], v[21:22]
	v_mul_f64_e32 v[27:28], s[8:9], v[28:29]
	;; [unrolled: 1-line block ×3, first 2 shown]
	global_store_b64 v[38:39], v[0:1], off
	global_store_b64 v[56:57], v[10:11], off
	;; [unrolled: 1-line block ×4, first 2 shown]
	v_add_co_u32 v4, vcc_lo, v60, s0
	s_wait_alu 0xfffd
	v_add_co_ci_u32_e32 v5, vcc_lo, s1, v61, vcc_lo
	s_delay_alu instid0(VALU_DEP_2)
	v_add_co_u32 v26, vcc_lo, v4, s0
	global_store_b64 v[4:5], v[2:3], off
	v_mul_f64_e32 v[22:23], s[8:9], v[50:51]
	v_mul_f64_e32 v[0:1], s[8:9], v[6:7]
	;; [unrolled: 1-line block ×6, first 2 shown]
	v_cvt_f32_f64_e32 v14, v[20:21]
	v_cvt_f32_f64_e32 v15, v[27:28]
	s_wait_alu 0xfffd
	v_add_co_ci_u32_e32 v27, vcc_lo, s1, v5, vcc_lo
	v_add_co_u32 v31, vcc_lo, v26, s2
	v_cvt_f32_f64_e32 v20, v[40:41]
	v_cvt_f32_f64_e32 v21, v[42:43]
	s_wait_alu 0xfffd
	v_add_co_ci_u32_e32 v32, vcc_lo, s3, v27, vcc_lo
	v_add_co_u32 v36, vcc_lo, v31, s0
	v_cvt_f32_f64_e32 v28, v[29:30]
	v_cvt_f32_f64_e32 v29, v[46:47]
	s_wait_alu 0xfffd
	v_add_co_ci_u32_e32 v37, vcc_lo, s1, v32, vcc_lo
	global_store_b64 v[26:27], v[8:9], off
	global_store_b64 v[31:32], v[12:13], off
	v_cvt_f32_f64_e32 v0, v[0:1]
	v_cvt_f32_f64_e32 v1, v[6:7]
	v_cvt_f32_f64_e32 v6, v[10:11]
	v_cvt_f32_f64_e32 v7, v[22:23]
	v_cvt_f32_f64_e32 v10, v[24:25]
	v_cvt_f32_f64_e32 v11, v[34:35]
	v_add_co_u32 v22, vcc_lo, v36, s0
	s_wait_alu 0xfffd
	v_add_co_ci_u32_e32 v23, vcc_lo, s1, v37, vcc_lo
	global_store_b64 v[36:37], v[14:15], off
	v_add_co_u32 v2, vcc_lo, v22, s2
	s_wait_alu 0xfffd
	v_add_co_ci_u32_e32 v3, vcc_lo, s3, v23, vcc_lo
	global_store_b64 v[22:23], v[16:17], off
	;; [unrolled: 4-line block ×3, first 2 shown]
	v_add_co_u32 v8, vcc_lo, v4, s0
	s_wait_alu 0xfffd
	v_add_co_ci_u32_e32 v9, vcc_lo, s1, v5, vcc_lo
	s_delay_alu instid0(VALU_DEP_2) | instskip(SKIP_1) | instid1(VALU_DEP_2)
	v_add_co_u32 v12, vcc_lo, v8, s2
	s_wait_alu 0xfffd
	v_add_co_ci_u32_e32 v13, vcc_lo, s3, v9, vcc_lo
	s_delay_alu instid0(VALU_DEP_2) | instskip(SKIP_1) | instid1(VALU_DEP_2)
	;; [unrolled: 4-line block ×3, first 2 shown]
	v_add_co_u32 v2, vcc_lo, v14, s0
	s_wait_alu 0xfffd
	v_add_co_ci_u32_e32 v3, vcc_lo, s1, v15, vcc_lo
	global_store_b64 v[4:5], v[18:19], off
	global_store_b64 v[8:9], v[28:29], off
	;; [unrolled: 1-line block ×5, first 2 shown]
.LBB0_2:
	s_nop 0
	s_sendmsg sendmsg(MSG_DEALLOC_VGPRS)
	s_endpgm
	.section	.rodata,"a",@progbits
	.p2align	6, 0x0
	.amdhsa_kernel bluestein_single_fwd_len6561_dim1_sp_op_CI_CI
		.amdhsa_group_segment_fixed_size 52488
		.amdhsa_private_segment_fixed_size 704
		.amdhsa_kernarg_size 104
		.amdhsa_user_sgpr_count 2
		.amdhsa_user_sgpr_dispatch_ptr 0
		.amdhsa_user_sgpr_queue_ptr 0
		.amdhsa_user_sgpr_kernarg_segment_ptr 1
		.amdhsa_user_sgpr_dispatch_id 0
		.amdhsa_user_sgpr_private_segment_size 0
		.amdhsa_wavefront_size32 1
		.amdhsa_uses_dynamic_stack 0
		.amdhsa_enable_private_segment 1
		.amdhsa_system_sgpr_workgroup_id_x 1
		.amdhsa_system_sgpr_workgroup_id_y 0
		.amdhsa_system_sgpr_workgroup_id_z 0
		.amdhsa_system_sgpr_workgroup_info 0
		.amdhsa_system_vgpr_workitem_id 0
		.amdhsa_next_free_vgpr 256
		.amdhsa_next_free_sgpr 20
		.amdhsa_reserve_vcc 1
		.amdhsa_float_round_mode_32 0
		.amdhsa_float_round_mode_16_64 0
		.amdhsa_float_denorm_mode_32 3
		.amdhsa_float_denorm_mode_16_64 3
		.amdhsa_fp16_overflow 0
		.amdhsa_workgroup_processor_mode 1
		.amdhsa_memory_ordered 1
		.amdhsa_forward_progress 0
		.amdhsa_round_robin_scheduling 0
		.amdhsa_exception_fp_ieee_invalid_op 0
		.amdhsa_exception_fp_denorm_src 0
		.amdhsa_exception_fp_ieee_div_zero 0
		.amdhsa_exception_fp_ieee_overflow 0
		.amdhsa_exception_fp_ieee_underflow 0
		.amdhsa_exception_fp_ieee_inexact 0
		.amdhsa_exception_int_div_zero 0
	.end_amdhsa_kernel
	.text
.Lfunc_end0:
	.size	bluestein_single_fwd_len6561_dim1_sp_op_CI_CI, .Lfunc_end0-bluestein_single_fwd_len6561_dim1_sp_op_CI_CI
                                        ; -- End function
	.section	.AMDGPU.csdata,"",@progbits
; Kernel info:
; codeLenInByte = 39404
; NumSgprs: 22
; NumVgprs: 256
; ScratchSize: 704
; MemoryBound: 0
; FloatMode: 240
; IeeeMode: 1
; LDSByteSize: 52488 bytes/workgroup (compile time only)
; SGPRBlocks: 2
; VGPRBlocks: 31
; NumSGPRsForWavesPerEU: 22
; NumVGPRsForWavesPerEU: 256
; Occupancy: 4
; WaveLimiterHint : 1
; COMPUTE_PGM_RSRC2:SCRATCH_EN: 1
; COMPUTE_PGM_RSRC2:USER_SGPR: 2
; COMPUTE_PGM_RSRC2:TRAP_HANDLER: 0
; COMPUTE_PGM_RSRC2:TGID_X_EN: 1
; COMPUTE_PGM_RSRC2:TGID_Y_EN: 0
; COMPUTE_PGM_RSRC2:TGID_Z_EN: 0
; COMPUTE_PGM_RSRC2:TIDIG_COMP_CNT: 0
	.text
	.p2alignl 7, 3214868480
	.fill 96, 4, 3214868480
	.type	__hip_cuid_c37217243d568a79,@object ; @__hip_cuid_c37217243d568a79
	.section	.bss,"aw",@nobits
	.globl	__hip_cuid_c37217243d568a79
__hip_cuid_c37217243d568a79:
	.byte	0                               ; 0x0
	.size	__hip_cuid_c37217243d568a79, 1

	.ident	"AMD clang version 19.0.0git (https://github.com/RadeonOpenCompute/llvm-project roc-6.4.0 25133 c7fe45cf4b819c5991fe208aaa96edf142730f1d)"
	.section	".note.GNU-stack","",@progbits
	.addrsig
	.addrsig_sym __hip_cuid_c37217243d568a79
	.amdgpu_metadata
---
amdhsa.kernels:
  - .args:
      - .actual_access:  read_only
        .address_space:  global
        .offset:         0
        .size:           8
        .value_kind:     global_buffer
      - .actual_access:  read_only
        .address_space:  global
        .offset:         8
        .size:           8
        .value_kind:     global_buffer
      - .actual_access:  read_only
        .address_space:  global
        .offset:         16
        .size:           8
        .value_kind:     global_buffer
      - .actual_access:  read_only
        .address_space:  global
        .offset:         24
        .size:           8
        .value_kind:     global_buffer
      - .actual_access:  read_only
        .address_space:  global
        .offset:         32
        .size:           8
        .value_kind:     global_buffer
      - .offset:         40
        .size:           8
        .value_kind:     by_value
      - .address_space:  global
        .offset:         48
        .size:           8
        .value_kind:     global_buffer
      - .address_space:  global
        .offset:         56
        .size:           8
        .value_kind:     global_buffer
      - .address_space:  global
        .offset:         64
        .size:           8
        .value_kind:     global_buffer
      - .address_space:  global
        .offset:         72
        .size:           8
        .value_kind:     global_buffer
      - .offset:         80
        .size:           4
        .value_kind:     by_value
      - .address_space:  global
        .offset:         88
        .size:           8
        .value_kind:     global_buffer
      - .address_space:  global
        .offset:         96
        .size:           8
        .value_kind:     global_buffer
    .group_segment_fixed_size: 52488
    .kernarg_segment_align: 8
    .kernarg_segment_size: 104
    .language:       OpenCL C
    .language_version:
      - 2
      - 0
    .max_flat_workgroup_size: 243
    .name:           bluestein_single_fwd_len6561_dim1_sp_op_CI_CI
    .private_segment_fixed_size: 704
    .sgpr_count:     22
    .sgpr_spill_count: 0
    .symbol:         bluestein_single_fwd_len6561_dim1_sp_op_CI_CI.kd
    .uniform_work_group_size: 1
    .uses_dynamic_stack: false
    .vgpr_count:     256
    .vgpr_spill_count: 175
    .wavefront_size: 32
    .workgroup_processor_mode: 1
amdhsa.target:   amdgcn-amd-amdhsa--gfx1201
amdhsa.version:
  - 1
  - 2
...

	.end_amdgpu_metadata
